;; amdgpu-corpus repo=ROCm/rocBLAS kind=compiled arch=gfx1250 opt=O3
	.amdgcn_target "amdgcn-amd-amdhsa--gfx1250"
	.amdhsa_code_object_version 6
	.section	.text._ZL18rocblas_her_kernelILi1024EPKfPK19rocblas_complex_numIfEPS3_EvbiT0_T1_lllT2_llli,"axG",@progbits,_ZL18rocblas_her_kernelILi1024EPKfPK19rocblas_complex_numIfEPS3_EvbiT0_T1_lllT2_llli,comdat
	.globl	_ZL18rocblas_her_kernelILi1024EPKfPK19rocblas_complex_numIfEPS3_EvbiT0_T1_lllT2_llli ; -- Begin function _ZL18rocblas_her_kernelILi1024EPKfPK19rocblas_complex_numIfEPS3_EvbiT0_T1_lllT2_llli
	.p2align	8
	.type	_ZL18rocblas_her_kernelILi1024EPKfPK19rocblas_complex_numIfEPS3_EvbiT0_T1_lllT2_llli,@function
_ZL18rocblas_her_kernelILi1024EPKfPK19rocblas_complex_numIfEPS3_EvbiT0_T1_lllT2_llli: ; @_ZL18rocblas_her_kernelILi1024EPKfPK19rocblas_complex_numIfEPS3_EvbiT0_T1_lllT2_llli
; %bb.0:
	s_load_b32 s33, s[0:1], 0x50
	s_bfe_u32 s2, ttmp6, 0x40014
	s_lshr_b32 s3, ttmp7, 16
	s_add_co_i32 s2, s2, 1
	s_bfe_u32 s5, ttmp6, 0x40008
	s_mul_i32 s4, s3, s2
	s_getreg_b32 s2, hwreg(HW_REG_IB_STS2, 6, 4)
	s_add_co_i32 s5, s5, s4
	s_cmp_eq_u32 s2, 0
	s_mov_b32 s25, 0
	s_cselect_b32 s6, s3, s5
	s_wait_kmcnt 0x0
	s_cmp_ge_u32 s6, s33
	s_cbranch_scc1 .LBB0_36
; %bb.1:
	s_clause 0x2
	s_load_b64 s[26:27], s[0:1], 0x0
	s_load_b512 s[8:23], s[0:1], 0x8
	s_load_b64 s[28:29], s[0:1], 0x48
	v_mov_b32_e32 v1, v0
	s_wait_kmcnt 0x0
	s_bitcmp1_b32 s26, 0
	v_cmp_gt_i32_e32 vcc_lo, s27, v0
	s_cselect_b32 s0, -1, 0
	s_bfe_u32 s1, ttmp6, 0x4000c
	s_and_b32 s3, ttmp6, 15
	s_add_co_i32 s1, s1, 1
	s_lshl_b64 s[4:5], s[12:13], 3
	s_mul_i32 s1, ttmp9, s1
	s_lshl_b64 s[34:35], s[22:23], 3
	s_xor_b32 s26, s0, -1
	s_add_co_i32 s3, s3, s1
	s_cmp_eq_u32 s2, 0
	v_dual_mov_b32 v3, 0 :: v_dual_cndmask_b32 v2, 0, v0
	s_cselect_b32 s12, ttmp9, s3
	s_add_nc_u64 s[2:3], s[18:19], s[34:35]
	v_add_nc_u32_e32 v4, s12, v0
	s_ashr_i32 s13, s12, 31
	s_add_co_i32 s30, s12, 1
	s_add_nc_u64 s[10:11], s[10:11], s[4:5]
	v_cmp_eq_u32_e64 s0, 0, v0
	v_add_max_i32_e64 v5, 0x401, v4, s27
	v_lshlrev_b32_e32 v2, 3, v2
	v_cmp_gt_i32_e64 s1, s12, v0
	s_mov_b32 s22, s14
	s_mov_b32 s23, s15
	v_sub_nc_u32_e32 v4, v5, v4
	v_xad_u32 v5, v0, -1, s12
	v_add_nc_u64_e32 v[6:7], s[2:3], v[2:3]
	s_mul_u64 s[2:3], s[20:21], s[12:13]
	s_mul_u64 s[20:21], s[14:15], s[12:13]
	s_delay_alu instid0(VALU_DEP_2)
	v_dual_add_nc_u32 v8, -2, v4 :: v_dual_lshrrev_b32 v9, 10, v5
	s_lshl_b64 s[4:5], s[2:3], 3
	v_cmp_lt_u32_e64 s2, 0x3ff, v5
	s_add_nc_u64 s[34:35], s[4:5], s[34:35]
	v_dual_lshrrev_b32 v10, 10, v8 :: v_dual_add_nc_u32 v11, 1, v9
	v_add_nc_u32_e32 v4, s30, v0
	v_and_b32_e32 v5, 0xfffffc00, v8
	v_add_nc_u64_e32 v[6:7], s[4:5], v[6:7]
	s_delay_alu instid0(VALU_DEP_4)
	v_add_nc_u32_e32 v10, 1, v10
	v_and_b32_e32 v23, 0x7ffffe, v11
	v_cmp_lt_u32_e32 vcc_lo, 0x1bff, v8
	s_add_nc_u64 s[18:19], s[18:19], s[34:35]
	v_cmp_gt_i32_e64 s3, s27, v4
	v_and_b32_e32 v22, 0x7ffffe, v10
	v_add_nc_u32_e32 v9, v4, v5
	v_add_nc_u32_e32 v5, 0x400, v4
	v_cmp_ne_u32_e64 s5, v11, v23
	s_add_co_i32 s31, s12, 0x401
	v_lshlrev_b32_e32 v12, 10, v22
	v_cmp_ge_i32_e64 s4, v9, v4
	v_add_nc_u64_e32 v[8:9], s[18:19], v[2:3]
	v_lshlrev_b32_e32 v24, 10, v23
	s_lshl_b64 s[18:19], s[28:29], 3
	v_add_nc_u32_e32 v25, v4, v12
	s_and_b32 s42, vcc_lo, s4
	v_cmp_ne_u32_e64 s4, v10, v22
	v_add_nc_u32_e32 v26, s30, v12
	s_lshl_b64 s[20:21], s[20:21], 3
	s_branch .LBB0_4
.LBB0_2:                                ;   in Loop: Header=BB0_4 Depth=1
	s_wait_xcnt 0x0
	s_or_b32 exec_lo, exec_lo, s7
.LBB0_3:                                ;   in Loop: Header=BB0_4 Depth=1
	s_add_co_i32 s6, s6, 0x10000
	s_delay_alu instid0(SALU_CYCLE_1)
	s_cmp_lt_u32 s6, s33
	s_cbranch_scc0 .LBB0_36
.LBB0_4:                                ; =>This Loop Header: Depth=1
                                        ;     Child Loop BB0_11 Depth 2
                                        ;     Child Loop BB0_19 Depth 2
	;; [unrolled: 1-line block ×4, first 2 shown]
	global_load_b32 v2, v3, s[8:9]
	s_wait_loadcnt 0x0
	v_cmp_eq_f32_e32 vcc_lo, 0, v2
	s_cbranch_vccnz .LBB0_3
; %bb.5:                                ;   in Loop: Header=BB0_4 Depth=1
	s_mov_b32 s7, s25
	s_and_b32 vcc_lo, exec_lo, s26
	s_mul_u64 s[34:35], s[16:17], s[6:7]
	s_mul_u64 s[44:45], s[28:29], s[6:7]
	s_lshl_b64 s[34:35], s[34:35], 3
	v_lshl_add_u64 v[14:15], s[44:45], 3, v[6:7]
	s_add_nc_u64 s[36:37], s[10:11], s[34:35]
	s_mul_u64 s[38:39], s[18:19], s[6:7]
	s_add_nc_u64 s[34:35], s[36:37], s[20:21]
	s_mov_b32 s7, -1
	s_load_b64 s[40:41], s[34:35], 0x0
	s_wait_kmcnt 0x0
	v_mul_f32_e32 v10, s41, v2
	s_mul_f32 s24, s41, 0
	s_delay_alu instid0(SALU_CYCLE_3) | instskip(NEXT) | instid1(VALU_DEP_2)
	v_fma_f32 v12, v2, s40, s24
	v_xor_b32_e32 v10, 0x80000000, v10
	s_delay_alu instid0(VALU_DEP_1)
	v_fmac_f32_e64 v10, s40, 0
	s_cbranch_vccz .LBB0_21
; %bb.6:                                ;   in Loop: Header=BB0_4 Depth=1
	s_and_saveexec_b32 s7, s0
	s_cbranch_execz .LBB0_8
; %bb.7:                                ;   in Loop: Header=BB0_4 Depth=1
	v_lshl_add_u64 v[16:17], s[12:13], 3, v[14:15]
	s_load_b64 s[40:41], s[34:35], 0x0
	global_load_b32 v2, v[16:17], off
	s_wait_kmcnt 0x0
	v_mul_f32_e32 v11, s41, v10
	s_delay_alu instid0(VALU_DEP_1) | instskip(NEXT) | instid1(VALU_DEP_1)
	v_xor_b32_e32 v11, 0x80000000, v11
	v_fmac_f32_e32 v11, s40, v12
	s_wait_loadcnt 0x0
	s_delay_alu instid0(VALU_DEP_1)
	v_add_f32_e32 v2, v2, v11
	global_store_b64 v[16:17], v[2:3], off
.LBB0_8:                                ;   in Loop: Header=BB0_4 Depth=1
	s_wait_xcnt 0x0
	s_or_b32 exec_lo, exec_lo, s7
	s_and_saveexec_b32 s7, s3
	s_cbranch_execz .LBB0_20
; %bb.9:                                ;   in Loop: Header=BB0_4 Depth=1
	s_mov_b32 s40, 0
                                        ; implicit-def: $vgpr2
	s_and_saveexec_b32 s24, s42
	s_delay_alu instid0(SALU_CYCLE_1)
	s_xor_b32 s24, exec_lo, s24
	s_cbranch_execz .LBB0_15
; %bb.10:                               ;   in Loop: Header=BB0_4 Depth=1
	v_mov_b64_e32 v[16:17], v[4:5]
	v_dual_mov_b32 v13, v12 :: v_dual_mov_b32 v11, v10
	v_mov_b32_e32 v2, v22
	s_mov_b32 s43, 0
	s_mov_b64 s[40:41], s[30:31]
.LBB0_11:                               ;   Parent Loop BB0_4 Depth=1
                                        ; =>  This Inner Loop Header: Depth=2
	s_delay_alu instid0(VALU_DEP_3) | instskip(SKIP_4) | instid1(VALU_DEP_1)
	v_dual_ashrrev_i32 v19, 31, v16 :: v_dual_ashrrev_i32 v21, 31, v17
	v_dual_mov_b32 v20, v17 :: v_dual_mov_b32 v18, v16
	s_ashr_i32 s47, s40, 31
	s_mov_b32 s46, s40
	s_ashr_i32 s45, s41, 31
	v_mul_u64_e32 v[20:21], s[14:15], v[20:21]
	v_mul_u64_e32 v[18:19], s[22:23], v[18:19]
	s_mov_b32 s44, s41
	v_lshl_add_u64 v[28:29], s[46:47], 3, v[14:15]
	v_lshl_add_u64 v[30:31], s[44:45], 3, v[14:15]
	v_add_nc_u32_e32 v16, 0x800, v16
	s_addk_co_i32 s41, 0x800
	s_addk_co_i32 s40, 0x800
	v_lshl_add_u64 v[20:21], v[20:21], 3, s[36:37]
	v_lshl_add_u64 v[18:19], v[18:19], 3, s[36:37]
	s_clause 0x1
	global_load_b64 v[32:33], v[20:21], off
	global_load_b64 v[34:35], v[18:19], off
	s_clause 0x1
	global_load_b64 v[36:37], v[28:29], off
	global_load_b64 v[38:39], v[30:31], off
	s_wait_loadcnt 0x2
	s_wait_xcnt 0x2
	v_dual_mov_b32 v19, v32 :: v_dual_mov_b32 v32, v35
	s_wait_loadcnt 0x1
	v_dual_mov_b32 v20, v36 :: v_dual_mov_b32 v18, v34
	s_wait_loadcnt 0x0
	v_dual_mov_b32 v21, v38 :: v_dual_mov_b32 v38, v37
	v_pk_mul_f32 v[34:35], v[10:11], v[32:33]
	v_pk_mul_f32 v[32:33], v[12:13], v[32:33]
	s_delay_alu instid0(VALU_DEP_2) | instskip(NEXT) | instid1(VALU_DEP_2)
	v_pk_fma_f32 v[34:35], v[12:13], v[18:19], v[34:35] neg_lo:[0,0,1] neg_hi:[0,0,1]
	v_pk_fma_f32 v[18:19], v[10:11], v[18:19], v[32:33]
	s_delay_alu instid0(VALU_DEP_2) | instskip(NEXT) | instid1(VALU_DEP_2)
	v_pk_add_f32 v[20:21], v[20:21], v[34:35]
	v_pk_add_f32 v[18:19], v[18:19], v[38:39]
	v_add_nc_u32_e32 v2, -2, v2
	s_delay_alu instid0(VALU_DEP_3) | instskip(NEXT) | instid1(VALU_DEP_3)
	v_dual_mov_b32 v32, v20 :: v_dual_add_nc_u32 v17, 0x800, v17
	v_mov_b32_e32 v33, v18
	s_delay_alu instid0(VALU_DEP_3)
	v_cmp_eq_u32_e32 vcc_lo, 0, v2
	v_mov_b32_e32 v18, v21
	s_clause 0x1
	global_store_b64 v[28:29], v[32:33], off
	global_store_b64 v[30:31], v[18:19], off
	s_or_b32 s43, vcc_lo, s43
	s_wait_xcnt 0x0
	s_and_not1_b32 exec_lo, exec_lo, s43
	s_cbranch_execnz .LBB0_11
; %bb.12:                               ;   in Loop: Header=BB0_4 Depth=1
	s_or_b32 exec_lo, exec_lo, s43
	s_mov_b32 s40, 0
                                        ; implicit-def: $vgpr2
	s_and_saveexec_b32 s41, s4
	s_delay_alu instid0(SALU_CYCLE_1)
	s_xor_b32 s41, exec_lo, s41
; %bb.13:                               ;   in Loop: Header=BB0_4 Depth=1
	v_add_nc_u32_e32 v2, v0, v26
	s_mov_b32 s40, exec_lo
; %bb.14:                               ;   in Loop: Header=BB0_4 Depth=1
	s_or_b32 exec_lo, exec_lo, s41
	s_delay_alu instid0(SALU_CYCLE_1)
	s_and_b32 s40, s40, exec_lo
.LBB0_15:                               ;   in Loop: Header=BB0_4 Depth=1
	s_or_saveexec_b32 s24, s24
	v_dual_mov_b32 v16, v26 :: v_dual_mov_b32 v18, v25
	s_xor_b32 exec_lo, exec_lo, s24
; %bb.16:                               ;   in Loop: Header=BB0_4 Depth=1
	v_dual_mov_b32 v16, s30 :: v_dual_mov_b32 v18, v4
	v_mov_b32_e32 v2, v4
	s_or_b32 s40, s40, exec_lo
; %bb.17:                               ;   in Loop: Header=BB0_4 Depth=1
	s_or_b32 exec_lo, exec_lo, s24
	s_delay_alu instid0(SALU_CYCLE_1)
	s_and_b32 exec_lo, exec_lo, s40
	s_cbranch_execz .LBB0_20
; %bb.18:                               ;   in Loop: Header=BB0_4 Depth=1
	v_dual_ashrrev_i32 v17, 31, v16 :: v_dual_mov_b32 v11, v10
	v_mov_b32_e32 v13, v12
	s_mov_b32 s24, 0
	s_delay_alu instid0(VALU_DEP_2) | instskip(NEXT) | instid1(VALU_DEP_1)
	v_lshl_add_u64 v[20:21], v[16:17], 3, s[38:39]
	v_add_nc_u64_e32 v[20:21], v[8:9], v[20:21]
.LBB0_19:                               ;   Parent Loop BB0_4 Depth=1
                                        ; =>  This Inner Loop Header: Depth=2
	v_add_nc_u32_e32 v16, 0x400, v16
	s_delay_alu instid0(VALU_DEP_2) | instskip(SKIP_1) | instid1(VALU_DEP_2)
	v_ashrrev_i32_e32 v19, 31, v18
	v_add_nc_u32_e32 v2, 0x400, v2
	v_mul_u64_e32 v[18:19], s[14:15], v[18:19]
	s_delay_alu instid0(VALU_DEP_2) | instskip(SKIP_1) | instid1(VALU_DEP_2)
	v_cmp_le_i32_e32 vcc_lo, s27, v2
	s_or_b32 s24, vcc_lo, s24
	v_lshl_add_u64 v[18:19], v[18:19], 3, s[36:37]
	global_load_b64 v[28:29], v[18:19], off
	global_load_b64 v[30:31], v[20:21], off
	s_wait_loadcnt 0x1
	s_wait_xcnt 0x1
	v_pk_mul_f32 v[18:19], v[10:11], v[28:29] op_sel:[0,1] op_sel_hi:[1,0]
	s_delay_alu instid0(VALU_DEP_1) | instskip(SKIP_1) | instid1(VALU_DEP_2)
	v_pk_fma_f32 v[32:33], v[12:13], v[28:29], v[18:19]
	v_pk_fma_f32 v[18:19], v[12:13], v[28:29], v[18:19] neg_lo:[0,0,1] neg_hi:[0,0,1]
	v_mov_b32_e32 v19, v33
	s_wait_loadcnt 0x0
	s_delay_alu instid0(VALU_DEP_1)
	v_pk_add_f32 v[18:19], v[30:31], v[18:19]
	global_store_b64 v[20:21], v[18:19], off
	s_wait_xcnt 0x0
	v_add_nc_u64_e32 v[20:21], 0x2000, v[20:21]
	v_add_nc_u32_e32 v18, v16, v0
	s_and_not1_b32 exec_lo, exec_lo, s24
	s_cbranch_execnz .LBB0_19
.LBB0_20:                               ;   in Loop: Header=BB0_4 Depth=1
	s_or_b32 exec_lo, exec_lo, s7
	s_mov_b32 s7, 0
.LBB0_21:                               ;   in Loop: Header=BB0_4 Depth=1
	s_delay_alu instid0(SALU_CYCLE_1)
	s_and_b32 vcc_lo, exec_lo, s7
	s_cbranch_vccz .LBB0_3
; %bb.22:                               ;   in Loop: Header=BB0_4 Depth=1
	v_mov_b64_e32 v[16:17], 0
	v_mov_b32_e32 v20, v0
	s_and_saveexec_b32 s7, s1
	s_cbranch_execz .LBB0_34
; %bb.23:                               ;   in Loop: Header=BB0_4 Depth=1
	s_mov_b32 s40, 0
                                        ; implicit-def: $vgpr20
	s_and_saveexec_b32 s24, s2
	s_delay_alu instid0(SALU_CYCLE_1)
	s_xor_b32 s43, exec_lo, s24
	s_cbranch_execnz .LBB0_26
; %bb.24:                               ;   in Loop: Header=BB0_4 Depth=1
	s_or_saveexec_b32 s24, s43
	v_mov_b32_e32 v16, v24
	s_xor_b32 exec_lo, exec_lo, s24
	s_cbranch_execnz .LBB0_29
.LBB0_25:                               ;   in Loop: Header=BB0_4 Depth=1
	s_or_b32 exec_lo, exec_lo, s24
	v_mov_b32_e32 v2, v24
	s_and_saveexec_b32 s24, s40
	s_cbranch_execnz .LBB0_30
	s_branch .LBB0_33
.LBB0_26:                               ;   in Loop: Header=BB0_4 Depth=1
	v_dual_mov_b32 v13, v12 :: v_dual_mov_b32 v11, v10
	v_mov_b32_e32 v16, v23
	s_mov_b32 s44, 0
	s_movk_i32 s40, 0x400
	s_mov_b32 s24, s44
.LBB0_27:                               ;   Parent Loop BB0_4 Depth=1
                                        ; =>  This Inner Loop Header: Depth=2
	v_dual_mov_b32 v19, v3 :: v_dual_bitop2_b32 v18, s40, v1 bitop3:0x54
	v_or_b32_e32 v2, s24, v0
	s_mov_b32 s41, s25
	v_lshl_add_u64 v[28:29], s[24:25], 3, v[14:15]
	v_lshl_add_u64 v[30:31], s[40:41], 3, v[14:15]
	v_mul_u64_e32 v[18:19], s[14:15], v[18:19]
	v_mul_u64_e32 v[20:21], s[22:23], v[2:3]
	s_add_co_i32 s41, s40, 0x800
	s_addk_co_i32 s24, 0x800
	v_dual_add_nc_u32 v16, -2, v16 :: v_dual_mov_b32 v2, s40
	s_mov_b32 s40, s41
	s_delay_alu instid0(VALU_DEP_1) | instskip(SKIP_1) | instid1(VALU_DEP_4)
	v_cmp_eq_u32_e32 vcc_lo, 0, v16
	s_or_b32 s44, vcc_lo, s44
	v_lshl_add_u64 v[18:19], v[18:19], 3, s[36:37]
	s_delay_alu instid0(VALU_DEP_4)
	v_lshl_add_u64 v[20:21], v[20:21], 3, s[36:37]
	s_clause 0x1
	global_load_b64 v[32:33], v[18:19], off
	global_load_b64 v[34:35], v[20:21], off
	s_clause 0x1
	global_load_b64 v[36:37], v[28:29], off
	global_load_b64 v[38:39], v[30:31], off
	s_wait_loadcnt 0x2
	s_wait_xcnt 0x3
	v_dual_mov_b32 v19, v32 :: v_dual_mov_b32 v32, v35
	s_wait_loadcnt 0x1
	s_wait_xcnt 0x2
	v_dual_mov_b32 v20, v36 :: v_dual_mov_b32 v18, v34
	s_wait_loadcnt 0x0
	v_dual_mov_b32 v21, v38 :: v_dual_mov_b32 v38, v37
	v_pk_mul_f32 v[34:35], v[10:11], v[32:33]
	v_pk_mul_f32 v[32:33], v[12:13], v[32:33]
	s_delay_alu instid0(VALU_DEP_2) | instskip(NEXT) | instid1(VALU_DEP_2)
	v_pk_fma_f32 v[34:35], v[12:13], v[18:19], v[34:35] neg_lo:[0,0,1] neg_hi:[0,0,1]
	v_pk_fma_f32 v[18:19], v[10:11], v[18:19], v[32:33]
	s_delay_alu instid0(VALU_DEP_2) | instskip(NEXT) | instid1(VALU_DEP_2)
	v_pk_add_f32 v[20:21], v[20:21], v[34:35]
	v_pk_add_f32 v[18:19], v[18:19], v[38:39]
	s_delay_alu instid0(VALU_DEP_1) | instskip(NEXT) | instid1(VALU_DEP_3)
	v_dual_mov_b32 v32, v20 :: v_dual_mov_b32 v33, v18
	v_mov_b32_e32 v18, v21
	s_clause 0x1
	global_store_b64 v[28:29], v[32:33], off
	global_store_b64 v[30:31], v[18:19], off
	s_wait_xcnt 0x0
	s_and_not1_b32 exec_lo, exec_lo, s44
	s_cbranch_execnz .LBB0_27
; %bb.28:                               ;   in Loop: Header=BB0_4 Depth=1
	s_or_b32 exec_lo, exec_lo, s44
	v_add3_u32 v20, v2, v0, 0x400
	s_and_b32 s40, s5, exec_lo
	s_or_saveexec_b32 s24, s43
	v_mov_b32_e32 v16, v24
	s_xor_b32 exec_lo, exec_lo, s24
	s_cbranch_execz .LBB0_25
.LBB0_29:                               ;   in Loop: Header=BB0_4 Depth=1
	v_mov_b32_e32 v16, 0
	s_or_b32 s40, s40, exec_lo
	s_or_b32 exec_lo, exec_lo, s24
	v_mov_b32_e32 v2, v24
	s_and_saveexec_b32 s24, s40
	s_cbranch_execz .LBB0_33
.LBB0_30:                               ;   in Loop: Header=BB0_4 Depth=1
	v_dual_mov_b32 v17, v3 :: v_dual_mov_b32 v11, v10
	v_mov_b32_e32 v13, v12
	s_delay_alu instid0(VALU_DEP_2) | instskip(SKIP_1) | instid1(VALU_DEP_1)
	v_lshl_add_u64 v[18:19], v[16:17], 3, s[38:39]
	s_mov_b32 s38, 0
	v_add_nc_u64_e32 v[18:19], v[8:9], v[18:19]
.LBB0_31:                               ;   Parent Loop BB0_4 Depth=1
                                        ; =>  This Inner Loop Header: Depth=2
	v_add_nc_u32_e32 v2, v0, v16
	v_add_nc_u32_e32 v16, 0x400, v16
	s_delay_alu instid0(VALU_DEP_2) | instskip(NEXT) | instid1(VALU_DEP_1)
	v_mul_u64_e32 v[20:21], s[14:15], v[2:3]
	v_lshl_add_u64 v[20:21], v[20:21], 3, s[36:37]
	global_load_b64 v[28:29], v[20:21], off
	global_load_b64 v[30:31], v[18:19], off
	s_wait_loadcnt 0x1
	s_wait_xcnt 0x1
	v_pk_mul_f32 v[20:21], v[10:11], v[28:29] op_sel:[0,1] op_sel_hi:[1,0]
	s_delay_alu instid0(VALU_DEP_1) | instskip(SKIP_1) | instid1(VALU_DEP_2)
	v_pk_fma_f32 v[32:33], v[12:13], v[28:29], v[20:21]
	v_pk_fma_f32 v[28:29], v[12:13], v[28:29], v[20:21] neg_lo:[0,0,1] neg_hi:[0,0,1]
	v_dual_mov_b32 v29, v33 :: v_dual_add_nc_u32 v20, v0, v16
	s_delay_alu instid0(VALU_DEP_1) | instskip(SKIP_1) | instid1(VALU_DEP_2)
	v_cmp_le_i32_e32 vcc_lo, s12, v20
	s_wait_loadcnt 0x0
	v_pk_add_f32 v[28:29], v[30:31], v[28:29]
	s_or_b32 s38, vcc_lo, s38
	global_store_b64 v[18:19], v[28:29], off
	s_wait_xcnt 0x0
	v_add_nc_u64_e32 v[18:19], 0x2000, v[18:19]
	s_and_not1_b32 exec_lo, exec_lo, s38
	s_cbranch_execnz .LBB0_31
; %bb.32:                               ;   in Loop: Header=BB0_4 Depth=1
	s_or_b32 exec_lo, exec_lo, s38
	v_mov_b32_e32 v2, v16
.LBB0_33:                               ;   in Loop: Header=BB0_4 Depth=1
	s_or_b32 exec_lo, exec_lo, s24
	s_delay_alu instid0(VALU_DEP_1)
	v_mov_b64_e32 v[16:17], v[2:3]
.LBB0_34:                               ;   in Loop: Header=BB0_4 Depth=1
	s_or_b32 exec_lo, exec_lo, s7
	s_delay_alu instid0(SALU_CYCLE_1)
	s_mov_b32 s7, exec_lo
	v_cmpx_eq_u32_e64 s12, v20
	s_cbranch_execz .LBB0_2
; %bb.35:                               ;   in Loop: Header=BB0_4 Depth=1
	s_delay_alu instid0(VALU_DEP_2) | instskip(SKIP_4) | instid1(VALU_DEP_1)
	v_lshl_add_u64 v[14:15], v[16:17], 3, v[14:15]
	s_load_b64 s[36:37], s[34:35], 0x0
	global_load_b32 v2, v[14:15], off
	s_wait_kmcnt 0x0
	v_mul_f32_e32 v10, s37, v10
	v_xor_b32_e32 v10, 0x80000000, v10
	s_delay_alu instid0(VALU_DEP_1) | instskip(SKIP_1) | instid1(VALU_DEP_1)
	v_fmac_f32_e32 v10, s36, v12
	s_wait_loadcnt 0x0
	v_add_f32_e32 v2, v2, v10
	global_store_b64 v[14:15], v[2:3], off
	s_branch .LBB0_2
.LBB0_36:
	s_endpgm
	.section	.rodata,"a",@progbits
	.p2align	6, 0x0
	.amdhsa_kernel _ZL18rocblas_her_kernelILi1024EPKfPK19rocblas_complex_numIfEPS3_EvbiT0_T1_lllT2_llli
		.amdhsa_group_segment_fixed_size 0
		.amdhsa_private_segment_fixed_size 0
		.amdhsa_kernarg_size 84
		.amdhsa_user_sgpr_count 2
		.amdhsa_user_sgpr_dispatch_ptr 0
		.amdhsa_user_sgpr_queue_ptr 0
		.amdhsa_user_sgpr_kernarg_segment_ptr 1
		.amdhsa_user_sgpr_dispatch_id 0
		.amdhsa_user_sgpr_kernarg_preload_length 0
		.amdhsa_user_sgpr_kernarg_preload_offset 0
		.amdhsa_user_sgpr_private_segment_size 0
		.amdhsa_wavefront_size32 1
		.amdhsa_uses_dynamic_stack 0
		.amdhsa_enable_private_segment 0
		.amdhsa_system_sgpr_workgroup_id_x 1
		.amdhsa_system_sgpr_workgroup_id_y 0
		.amdhsa_system_sgpr_workgroup_id_z 1
		.amdhsa_system_sgpr_workgroup_info 0
		.amdhsa_system_vgpr_workitem_id 0
		.amdhsa_next_free_vgpr 40
		.amdhsa_next_free_sgpr 48
		.amdhsa_named_barrier_count 0
		.amdhsa_reserve_vcc 1
		.amdhsa_float_round_mode_32 0
		.amdhsa_float_round_mode_16_64 0
		.amdhsa_float_denorm_mode_32 3
		.amdhsa_float_denorm_mode_16_64 3
		.amdhsa_fp16_overflow 0
		.amdhsa_memory_ordered 1
		.amdhsa_forward_progress 1
		.amdhsa_inst_pref_size 18
		.amdhsa_round_robin_scheduling 0
		.amdhsa_exception_fp_ieee_invalid_op 0
		.amdhsa_exception_fp_denorm_src 0
		.amdhsa_exception_fp_ieee_div_zero 0
		.amdhsa_exception_fp_ieee_overflow 0
		.amdhsa_exception_fp_ieee_underflow 0
		.amdhsa_exception_fp_ieee_inexact 0
		.amdhsa_exception_int_div_zero 0
	.end_amdhsa_kernel
	.section	.text._ZL18rocblas_her_kernelILi1024EPKfPK19rocblas_complex_numIfEPS3_EvbiT0_T1_lllT2_llli,"axG",@progbits,_ZL18rocblas_her_kernelILi1024EPKfPK19rocblas_complex_numIfEPS3_EvbiT0_T1_lllT2_llli,comdat
.Lfunc_end0:
	.size	_ZL18rocblas_her_kernelILi1024EPKfPK19rocblas_complex_numIfEPS3_EvbiT0_T1_lllT2_llli, .Lfunc_end0-_ZL18rocblas_her_kernelILi1024EPKfPK19rocblas_complex_numIfEPS3_EvbiT0_T1_lllT2_llli
                                        ; -- End function
	.set _ZL18rocblas_her_kernelILi1024EPKfPK19rocblas_complex_numIfEPS3_EvbiT0_T1_lllT2_llli.num_vgpr, 40
	.set _ZL18rocblas_her_kernelILi1024EPKfPK19rocblas_complex_numIfEPS3_EvbiT0_T1_lllT2_llli.num_agpr, 0
	.set _ZL18rocblas_her_kernelILi1024EPKfPK19rocblas_complex_numIfEPS3_EvbiT0_T1_lllT2_llli.numbered_sgpr, 48
	.set _ZL18rocblas_her_kernelILi1024EPKfPK19rocblas_complex_numIfEPS3_EvbiT0_T1_lllT2_llli.num_named_barrier, 0
	.set _ZL18rocblas_her_kernelILi1024EPKfPK19rocblas_complex_numIfEPS3_EvbiT0_T1_lllT2_llli.private_seg_size, 0
	.set _ZL18rocblas_her_kernelILi1024EPKfPK19rocblas_complex_numIfEPS3_EvbiT0_T1_lllT2_llli.uses_vcc, 1
	.set _ZL18rocblas_her_kernelILi1024EPKfPK19rocblas_complex_numIfEPS3_EvbiT0_T1_lllT2_llli.uses_flat_scratch, 0
	.set _ZL18rocblas_her_kernelILi1024EPKfPK19rocblas_complex_numIfEPS3_EvbiT0_T1_lllT2_llli.has_dyn_sized_stack, 0
	.set _ZL18rocblas_her_kernelILi1024EPKfPK19rocblas_complex_numIfEPS3_EvbiT0_T1_lllT2_llli.has_recursion, 0
	.set _ZL18rocblas_her_kernelILi1024EPKfPK19rocblas_complex_numIfEPS3_EvbiT0_T1_lllT2_llli.has_indirect_call, 0
	.section	.AMDGPU.csdata,"",@progbits
; Kernel info:
; codeLenInByte = 2188
; TotalNumSgprs: 50
; NumVgprs: 40
; ScratchSize: 0
; MemoryBound: 0
; FloatMode: 240
; IeeeMode: 1
; LDSByteSize: 0 bytes/workgroup (compile time only)
; SGPRBlocks: 0
; VGPRBlocks: 2
; NumSGPRsForWavesPerEU: 50
; NumVGPRsForWavesPerEU: 40
; NamedBarCnt: 0
; Occupancy: 16
; WaveLimiterHint : 0
; COMPUTE_PGM_RSRC2:SCRATCH_EN: 0
; COMPUTE_PGM_RSRC2:USER_SGPR: 2
; COMPUTE_PGM_RSRC2:TRAP_HANDLER: 0
; COMPUTE_PGM_RSRC2:TGID_X_EN: 1
; COMPUTE_PGM_RSRC2:TGID_Y_EN: 0
; COMPUTE_PGM_RSRC2:TGID_Z_EN: 1
; COMPUTE_PGM_RSRC2:TIDIG_COMP_CNT: 0
	.section	.text._ZL18rocblas_her_kernelILi1024EfPK19rocblas_complex_numIfEPS1_EvbiT0_T1_lllT2_llli,"axG",@progbits,_ZL18rocblas_her_kernelILi1024EfPK19rocblas_complex_numIfEPS1_EvbiT0_T1_lllT2_llli,comdat
	.globl	_ZL18rocblas_her_kernelILi1024EfPK19rocblas_complex_numIfEPS1_EvbiT0_T1_lllT2_llli ; -- Begin function _ZL18rocblas_her_kernelILi1024EfPK19rocblas_complex_numIfEPS1_EvbiT0_T1_lllT2_llli
	.p2align	8
	.type	_ZL18rocblas_her_kernelILi1024EfPK19rocblas_complex_numIfEPS1_EvbiT0_T1_lllT2_llli,@function
_ZL18rocblas_her_kernelILi1024EfPK19rocblas_complex_numIfEPS1_EvbiT0_T1_lllT2_llli: ; @_ZL18rocblas_her_kernelILi1024EfPK19rocblas_complex_numIfEPS1_EvbiT0_T1_lllT2_llli
; %bb.0:
	s_load_b32 s23, s[0:1], 0x50
	s_bfe_u32 s2, ttmp6, 0x40014
	s_lshr_b32 s3, ttmp7, 16
	s_add_co_i32 s2, s2, 1
	s_bfe_u32 s5, ttmp6, 0x40008
	s_mul_i32 s4, s3, s2
	s_getreg_b32 s2, hwreg(HW_REG_IB_STS2, 6, 4)
	s_add_co_i32 s5, s5, s4
	s_cmp_eq_u32 s2, 0
	s_mov_b32 s27, 0
	s_cselect_b32 s24, s3, s5
	s_wait_kmcnt 0x0
	s_cmp_ge_u32 s24, s23
	s_cbranch_scc1 .LBB1_36
; %bb.1:
	s_clause 0x1
	s_load_b96 s[20:22], s[0:1], 0x0
	s_load_b512 s[4:19], s[0:1], 0x10
	v_dual_mov_b32 v3, 0 :: v_dual_mov_b32 v1, v0
	s_wait_kmcnt 0x0
	s_bitcmp1_b32 s20, 0
	v_cmp_gt_i32_e32 vcc_lo, s21, v0
	s_cselect_b32 s0, -1, 0
	s_lshl_b64 s[30:31], s[6:7], 3
	s_lshl_b64 s[36:37], s[16:17], 3
	s_xor_b32 s20, s0, -1
	s_cmp_neq_f32 s22, 0
	s_add_nc_u64 s[30:31], s[4:5], s[30:31]
	v_cmp_eq_u32_e64 s0, 0, v0
	s_mov_b32 s6, s8
	s_cselect_b32 s33, -1, 0
	s_bfe_u32 s1, ttmp6, 0x4000c
	s_and_b32 s3, ttmp6, 15
	s_add_co_i32 s1, s1, 1
	s_mov_b32 s7, s9
	s_mul_i32 s1, ttmp9, s1
	s_mov_b32 s28, s8
	s_add_co_i32 s3, s3, s1
	s_cmp_eq_u32 s2, 0
	s_mov_b32 s29, s9
	s_cselect_b32 s16, ttmp9, s3
	s_delay_alu instid0(SALU_CYCLE_1)
	v_dual_cndmask_b32 v2, 0, v0, vcc_lo :: v_dual_add_nc_u32 v4, s16, v0
	s_add_nc_u64 s[2:3], s[12:13], s[36:37]
	s_ashr_i32 s17, s16, 31
	s_add_co_i32 s34, s16, 1
	v_cmp_gt_i32_e64 s1, s16, v0
	v_add_max_i32_e64 v5, 0x401, v4, s21
	v_lshlrev_b32_e32 v2, 3, v2
	s_add_co_i32 s35, s16, 0x401
	s_delay_alu instid0(VALU_DEP_2) | instskip(SKIP_1) | instid1(VALU_DEP_3)
	v_sub_nc_u32_e32 v4, v5, v4
	v_xad_u32 v5, v0, -1, s16
	v_add_nc_u64_e32 v[6:7], s[2:3], v[2:3]
	s_mul_u64 s[2:3], s[14:15], s[16:17]
	s_mul_u64 s[14:15], s[8:9], s[16:17]
	s_delay_alu instid0(VALU_DEP_2) | instskip(SKIP_2) | instid1(VALU_DEP_3)
	v_dual_add_nc_u32 v8, -2, v4 :: v_dual_lshrrev_b32 v9, 10, v5
	s_lshl_b64 s[4:5], s[2:3], 3
	v_cmp_lt_u32_e64 s2, 0x3ff, v5
	v_add_nc_u64_e32 v[6:7], s[4:5], v[6:7]
	s_delay_alu instid0(VALU_DEP_3) | instskip(SKIP_3) | instid1(VALU_DEP_3)
	v_dual_lshrrev_b32 v5, 10, v8 :: v_dual_add_nc_u32 v12, 1, v9
	v_add_nc_u32_e32 v4, s34, v0
	v_and_b32_e32 v10, 0xfffffc00, v8
	s_add_nc_u64 s[4:5], s[4:5], s[36:37]
	v_add_nc_u32_e32 v11, 1, v5
	v_and_b32_e32 v23, 0x7ffffe, v12
	s_add_nc_u64 s[12:13], s[12:13], s[4:5]
	v_add_nc_u32_e32 v9, v4, v10
	v_cmp_lt_u32_e32 vcc_lo, 0x1bff, v8
	v_and_b32_e32 v22, 0x7ffffe, v11
	v_lshlrev_b32_e32 v24, 10, v23
	v_cmp_gt_i32_e64 s3, s21, v4
	v_cmp_ge_i32_e64 s5, v9, v4
	v_add_nc_u64_e32 v[8:9], s[12:13], v[2:3]
	v_lshlrev_b32_e32 v2, 10, v22
	v_add_nc_u32_e32 v5, 0x400, v4
	v_cmp_ne_u32_e64 s4, v12, v23
	s_and_b32 s48, vcc_lo, s5
	v_cmp_ne_u32_e64 s5, v11, v22
	v_dual_add_nc_u32 v25, v4, v2 :: v_dual_add_nc_u32 v26, s34, v2
	s_lshl_b64 s[12:13], s[18:19], 3
	s_lshl_b64 s[14:15], s[14:15], 3
	s_branch .LBB1_4
.LBB1_2:                                ;   in Loop: Header=BB1_4 Depth=1
	s_wait_xcnt 0x0
	s_or_b32 exec_lo, exec_lo, s25
.LBB1_3:                                ;   in Loop: Header=BB1_4 Depth=1
	s_add_co_i32 s24, s24, 0x10000
	s_delay_alu instid0(SALU_CYCLE_1)
	s_cmp_lt_u32 s24, s23
	s_cbranch_scc0 .LBB1_36
.LBB1_4:                                ; =>This Loop Header: Depth=1
                                        ;     Child Loop BB1_11 Depth 2
                                        ;     Child Loop BB1_19 Depth 2
	;; [unrolled: 1-line block ×4, first 2 shown]
	s_and_not1_b32 vcc_lo, exec_lo, s33
	s_cbranch_vccnz .LBB1_3
; %bb.5:                                ;   in Loop: Header=BB1_4 Depth=1
	s_mov_b32 s25, s27
	s_and_b32 vcc_lo, exec_lo, s20
	s_wait_xcnt 0x0
	s_mul_u64 s[36:37], s[10:11], s[24:25]
	s_mul_u64 s[44:45], s[12:13], s[24:25]
	s_lshl_b64 s[36:37], s[36:37], 3
	s_mul_u64 s[46:47], s[18:19], s[24:25]
	s_add_nc_u64 s[42:43], s[30:31], s[36:37]
	v_lshl_add_u64 v[10:11], s[46:47], 3, v[6:7]
	s_add_nc_u64 s[36:37], s[42:43], s[14:15]
	s_load_b64 s[40:41], s[36:37], 0x0
	s_wait_kmcnt 0x0
	s_mul_f32 s25, s22, s41
	s_mul_f32 s38, s41, 0
	s_delay_alu instid0(SALU_CYCLE_2) | instskip(NEXT) | instid1(SALU_CYCLE_2)
	s_xor_b32 s25, s25, 0x80000000
	s_fmac_f32 s38, s22, s40
	s_fmamk_f32 s40, s40, 0x0, s25
	s_mov_b32 s25, -1
	s_cbranch_vccz .LBB1_21
; %bb.6:                                ;   in Loop: Header=BB1_4 Depth=1
	s_and_saveexec_b32 s25, s0
	s_cbranch_execz .LBB1_8
; %bb.7:                                ;   in Loop: Header=BB1_4 Depth=1
	v_lshl_add_u64 v[12:13], s[16:17], 3, v[10:11]
	s_load_b64 s[46:47], s[36:37], 0x0
	global_load_b32 v2, v[12:13], off
	s_wait_kmcnt 0x0
	s_mul_f32 s26, s40, s47
	s_delay_alu instid0(SALU_CYCLE_3) | instskip(NEXT) | instid1(SALU_CYCLE_1)
	s_xor_b32 s26, s26, 0x80000000
	s_fmac_f32 s26, s38, s46
	s_wait_loadcnt 0x0
	s_delay_alu instid0(SALU_CYCLE_2)
	v_add_f32_e32 v2, s26, v2
	global_store_b64 v[12:13], v[2:3], off
.LBB1_8:                                ;   in Loop: Header=BB1_4 Depth=1
	s_wait_xcnt 0x0
	s_or_b32 exec_lo, exec_lo, s25
	s_and_saveexec_b32 s25, s3
	s_cbranch_execz .LBB1_20
; %bb.9:                                ;   in Loop: Header=BB1_4 Depth=1
	v_mov_b64_e32 v[12:13], s[40:41]
	v_mov_b64_e32 v[14:15], s[38:39]
	s_mov_b32 s39, 0
                                        ; implicit-def: $vgpr2
	s_and_saveexec_b32 s26, s48
	s_delay_alu instid0(SALU_CYCLE_1)
	s_xor_b32 s26, exec_lo, s26
	s_cbranch_execz .LBB1_15
; %bb.10:                               ;   in Loop: Header=BB1_4 Depth=1
	v_mov_b64_e32 v[12:13], v[4:5]
	v_mov_b32_e32 v2, v22
	s_mov_b32 s39, s38
	s_mov_b32 s41, s40
	;; [unrolled: 1-line block ×3, first 2 shown]
	s_mov_b64 s[46:47], s[34:35]
.LBB1_11:                               ;   Parent Loop BB1_4 Depth=1
                                        ; =>  This Inner Loop Header: Depth=2
	s_delay_alu instid0(VALU_DEP_2) | instskip(SKIP_4) | instid1(VALU_DEP_1)
	v_dual_ashrrev_i32 v15, 31, v12 :: v_dual_ashrrev_i32 v17, 31, v13
	v_dual_mov_b32 v16, v13 :: v_dual_mov_b32 v14, v12
	s_ashr_i32 s53, s46, 31
	s_mov_b32 s52, s46
	s_ashr_i32 s51, s47, 31
	v_mul_u64_e32 v[16:17], s[28:29], v[16:17]
	v_mul_u64_e32 v[14:15], s[6:7], v[14:15]
	s_mov_b32 s50, s47
	v_lshl_add_u64 v[18:19], s[52:53], 3, v[10:11]
	v_lshl_add_u64 v[20:21], s[50:51], 3, v[10:11]
	v_add_nc_u32_e32 v12, 0x800, v12
	s_addk_co_i32 s47, 0x800
	s_addk_co_i32 s46, 0x800
	v_lshl_add_u64 v[16:17], v[16:17], 3, s[42:43]
	v_lshl_add_u64 v[14:15], v[14:15], 3, s[42:43]
	s_clause 0x1
	global_load_b64 v[28:29], v[16:17], off
	global_load_b64 v[30:31], v[14:15], off
	s_clause 0x1
	global_load_b64 v[32:33], v[18:19], off
	global_load_b64 v[34:35], v[20:21], off
	s_wait_xcnt 0x2
	v_mov_b64_e32 v[14:15], s[40:41]
	v_mov_b64_e32 v[16:17], s[38:39]
	s_wait_loadcnt 0x2
	v_dual_mov_b32 v37, v28 :: v_dual_mov_b32 v28, v31
	s_wait_loadcnt 0x1
	v_dual_mov_b32 v38, v32 :: v_dual_mov_b32 v36, v30
	;; [unrolled: 2-line block ×3, first 2 shown]
	v_pk_mul_f32 v[30:31], v[14:15], v[28:29]
	v_pk_mul_f32 v[28:29], v[16:17], v[28:29]
	s_delay_alu instid0(VALU_DEP_2) | instskip(NEXT) | instid1(VALU_DEP_2)
	v_pk_fma_f32 v[16:17], v[16:17], v[36:37], v[30:31] neg_lo:[0,0,1] neg_hi:[0,0,1]
	v_pk_fma_f32 v[14:15], v[14:15], v[36:37], v[28:29]
	s_delay_alu instid0(VALU_DEP_2) | instskip(NEXT) | instid1(VALU_DEP_2)
	v_pk_add_f32 v[16:17], v[38:39], v[16:17]
	v_pk_add_f32 v[14:15], v[14:15], v[34:35]
	v_add_nc_u32_e32 v2, -2, v2
	s_delay_alu instid0(VALU_DEP_3) | instskip(NEXT) | instid1(VALU_DEP_3)
	v_dual_mov_b32 v28, v16 :: v_dual_add_nc_u32 v13, 0x800, v13
	v_mov_b32_e32 v29, v14
	s_delay_alu instid0(VALU_DEP_3)
	v_cmp_eq_u32_e32 vcc_lo, 0, v2
	v_mov_b32_e32 v14, v17
	s_clause 0x1
	global_store_b64 v[18:19], v[28:29], off
	global_store_b64 v[20:21], v[14:15], off
	s_or_b32 s49, vcc_lo, s49
	s_wait_xcnt 0x0
	s_and_not1_b32 exec_lo, exec_lo, s49
	s_cbranch_execnz .LBB1_11
; %bb.12:                               ;   in Loop: Header=BB1_4 Depth=1
	s_or_b32 exec_lo, exec_lo, s49
	s_mov_b32 s39, 0
                                        ; implicit-def: $vgpr2
	s_and_saveexec_b32 s41, s5
	s_delay_alu instid0(SALU_CYCLE_1)
	s_xor_b32 s41, exec_lo, s41
; %bb.13:                               ;   in Loop: Header=BB1_4 Depth=1
	v_add_nc_u32_e32 v2, v0, v26
	s_mov_b32 s39, exec_lo
; %bb.14:                               ;   in Loop: Header=BB1_4 Depth=1
	s_or_b32 exec_lo, exec_lo, s41
	v_mov_b64_e32 v[12:13], s[40:41]
	v_mov_b64_e32 v[14:15], s[38:39]
	s_and_b32 s39, s39, exec_lo
.LBB1_15:                               ;   in Loop: Header=BB1_4 Depth=1
	s_or_saveexec_b32 s26, s26
	v_dual_mov_b32 v16, v26 :: v_dual_mov_b32 v18, v25
	s_xor_b32 exec_lo, exec_lo, s26
; %bb.16:                               ;   in Loop: Header=BB1_4 Depth=1
	v_dual_mov_b32 v16, s34 :: v_dual_mov_b32 v18, v4
	v_mov_b32_e32 v2, v4
	s_or_b32 s39, s39, exec_lo
; %bb.17:                               ;   in Loop: Header=BB1_4 Depth=1
	s_or_b32 exec_lo, exec_lo, s26
	s_delay_alu instid0(SALU_CYCLE_1)
	s_and_b32 exec_lo, exec_lo, s39
	s_cbranch_execz .LBB1_20
; %bb.18:                               ;   in Loop: Header=BB1_4 Depth=1
	v_dual_ashrrev_i32 v17, 31, v16 :: v_dual_mov_b32 v13, s40
	v_mov_b32_e32 v15, s38
	s_mov_b32 s26, 0
	s_delay_alu instid0(VALU_DEP_2) | instskip(NEXT) | instid1(VALU_DEP_1)
	v_lshl_add_u64 v[20:21], v[16:17], 3, s[44:45]
	v_add_nc_u64_e32 v[20:21], v[8:9], v[20:21]
.LBB1_19:                               ;   Parent Loop BB1_4 Depth=1
                                        ; =>  This Inner Loop Header: Depth=2
	v_add_nc_u32_e32 v16, 0x400, v16
	s_delay_alu instid0(VALU_DEP_2) | instskip(SKIP_1) | instid1(VALU_DEP_2)
	v_ashrrev_i32_e32 v19, 31, v18
	v_add_nc_u32_e32 v2, 0x400, v2
	v_mul_u64_e32 v[18:19], s[8:9], v[18:19]
	s_delay_alu instid0(VALU_DEP_2) | instskip(SKIP_1) | instid1(VALU_DEP_2)
	v_cmp_le_i32_e32 vcc_lo, s21, v2
	s_or_b32 s26, vcc_lo, s26
	v_lshl_add_u64 v[18:19], v[18:19], 3, s[42:43]
	global_load_b64 v[28:29], v[18:19], off
	global_load_b64 v[30:31], v[20:21], off
	s_wait_loadcnt 0x1
	s_wait_xcnt 0x1
	v_pk_mul_f32 v[18:19], v[12:13], v[28:29] op_sel:[0,1] op_sel_hi:[1,0]
	s_delay_alu instid0(VALU_DEP_1) | instskip(SKIP_1) | instid1(VALU_DEP_2)
	v_pk_fma_f32 v[32:33], v[14:15], v[28:29], v[18:19]
	v_pk_fma_f32 v[18:19], v[14:15], v[28:29], v[18:19] neg_lo:[0,0,1] neg_hi:[0,0,1]
	v_mov_b32_e32 v19, v33
	s_wait_loadcnt 0x0
	s_delay_alu instid0(VALU_DEP_1)
	v_pk_add_f32 v[18:19], v[30:31], v[18:19]
	global_store_b64 v[20:21], v[18:19], off
	s_wait_xcnt 0x0
	v_add_nc_u64_e32 v[20:21], 0x2000, v[20:21]
	v_add_nc_u32_e32 v18, v16, v0
	s_and_not1_b32 exec_lo, exec_lo, s26
	s_cbranch_execnz .LBB1_19
.LBB1_20:                               ;   in Loop: Header=BB1_4 Depth=1
	s_or_b32 exec_lo, exec_lo, s25
	s_mov_b32 s25, 0
.LBB1_21:                               ;   in Loop: Header=BB1_4 Depth=1
	s_delay_alu instid0(SALU_CYCLE_1)
	s_and_b32 vcc_lo, exec_lo, s25
	s_cbranch_vccz .LBB1_3
; %bb.22:                               ;   in Loop: Header=BB1_4 Depth=1
	v_mov_b64_e32 v[12:13], 0
	v_mov_b32_e32 v17, v0
	s_and_saveexec_b32 s25, s1
	s_cbranch_execz .LBB1_34
; %bb.23:                               ;   in Loop: Header=BB1_4 Depth=1
	v_mov_b64_e32 v[12:13], s[40:41]
	v_mov_b64_e32 v[14:15], s[38:39]
	s_mov_b32 s39, 0
                                        ; implicit-def: $vgpr17
	s_and_saveexec_b32 s26, s2
	s_delay_alu instid0(SALU_CYCLE_1)
	s_xor_b32 s49, exec_lo, s26
	s_cbranch_execnz .LBB1_26
; %bb.24:                               ;   in Loop: Header=BB1_4 Depth=1
	s_or_saveexec_b32 s26, s49
	v_mov_b32_e32 v16, v24
	s_xor_b32 exec_lo, exec_lo, s26
	s_cbranch_execnz .LBB1_29
.LBB1_25:                               ;   in Loop: Header=BB1_4 Depth=1
	s_or_b32 exec_lo, exec_lo, s26
	v_mov_b32_e32 v2, v24
	s_and_saveexec_b32 s26, s39
	s_cbranch_execnz .LBB1_30
	s_branch .LBB1_33
.LBB1_26:                               ;   in Loop: Header=BB1_4 Depth=1
	v_mov_b32_e32 v12, v23
	s_mov_b32 s50, 0
	s_mov_b32 s39, s38
	;; [unrolled: 1-line block ×3, first 2 shown]
	s_movk_i32 s46, 0x400
	s_mov_b32 s26, s50
.LBB1_27:                               ;   Parent Loop BB1_4 Depth=1
                                        ; =>  This Inner Loop Header: Depth=2
	v_dual_mov_b32 v15, v3 :: v_dual_bitop2_b32 v14, s46, v1 bitop3:0x54
	v_or_b32_e32 v2, s26, v0
	s_mov_b32 s47, s27
	v_lshl_add_u64 v[18:19], s[26:27], 3, v[10:11]
	v_lshl_add_u64 v[20:21], s[46:47], 3, v[10:11]
	v_mul_u64_e32 v[14:15], s[28:29], v[14:15]
	v_mul_u64_e32 v[16:17], s[6:7], v[2:3]
	s_add_co_i32 s47, s46, 0x800
	s_addk_co_i32 s26, 0x800
	v_dual_add_nc_u32 v12, -2, v12 :: v_dual_mov_b32 v2, s46
	s_mov_b32 s46, s47
	s_delay_alu instid0(VALU_DEP_1) | instskip(SKIP_1) | instid1(VALU_DEP_4)
	v_cmp_eq_u32_e32 vcc_lo, 0, v12
	s_or_b32 s50, vcc_lo, s50
	v_lshl_add_u64 v[14:15], v[14:15], 3, s[42:43]
	s_delay_alu instid0(VALU_DEP_4)
	v_lshl_add_u64 v[16:17], v[16:17], 3, s[42:43]
	s_clause 0x1
	global_load_b64 v[28:29], v[14:15], off
	global_load_b64 v[30:31], v[16:17], off
	s_clause 0x1
	global_load_b64 v[32:33], v[18:19], off
	global_load_b64 v[34:35], v[20:21], off
	s_wait_xcnt 0x3
	v_mov_b64_e32 v[14:15], s[40:41]
	s_wait_xcnt 0x2
	v_mov_b64_e32 v[16:17], s[38:39]
	s_wait_loadcnt 0x2
	v_dual_mov_b32 v37, v28 :: v_dual_mov_b32 v28, v31
	s_wait_loadcnt 0x1
	v_dual_mov_b32 v38, v32 :: v_dual_mov_b32 v36, v30
	;; [unrolled: 2-line block ×3, first 2 shown]
	v_pk_mul_f32 v[30:31], v[14:15], v[28:29]
	v_pk_mul_f32 v[28:29], v[16:17], v[28:29]
	s_delay_alu instid0(VALU_DEP_2) | instskip(NEXT) | instid1(VALU_DEP_2)
	v_pk_fma_f32 v[16:17], v[16:17], v[36:37], v[30:31] neg_lo:[0,0,1] neg_hi:[0,0,1]
	v_pk_fma_f32 v[14:15], v[14:15], v[36:37], v[28:29]
	s_delay_alu instid0(VALU_DEP_2) | instskip(NEXT) | instid1(VALU_DEP_2)
	v_pk_add_f32 v[16:17], v[38:39], v[16:17]
	v_pk_add_f32 v[14:15], v[14:15], v[34:35]
	s_delay_alu instid0(VALU_DEP_1) | instskip(NEXT) | instid1(VALU_DEP_3)
	v_dual_mov_b32 v28, v16 :: v_dual_mov_b32 v29, v14
	v_mov_b32_e32 v14, v17
	s_clause 0x1
	global_store_b64 v[18:19], v[28:29], off
	global_store_b64 v[20:21], v[14:15], off
	s_wait_xcnt 0x0
	s_and_not1_b32 exec_lo, exec_lo, s50
	s_cbranch_execnz .LBB1_27
; %bb.28:                               ;   in Loop: Header=BB1_4 Depth=1
	s_or_b32 exec_lo, exec_lo, s50
	v_mov_b64_e32 v[12:13], s[40:41]
	v_mov_b64_e32 v[14:15], s[38:39]
	v_add3_u32 v17, v2, v0, 0x400
	s_and_b32 s39, s4, exec_lo
	s_or_saveexec_b32 s26, s49
	v_mov_b32_e32 v16, v24
	s_xor_b32 exec_lo, exec_lo, s26
	s_cbranch_execz .LBB1_25
.LBB1_29:                               ;   in Loop: Header=BB1_4 Depth=1
	v_mov_b32_e32 v16, 0
	s_or_b32 s39, s39, exec_lo
	s_or_b32 exec_lo, exec_lo, s26
	v_mov_b32_e32 v2, v24
	s_and_saveexec_b32 s26, s39
	s_cbranch_execz .LBB1_33
.LBB1_30:                               ;   in Loop: Header=BB1_4 Depth=1
	v_dual_mov_b32 v17, v3 :: v_dual_mov_b32 v13, s40
	v_mov_b32_e32 v15, s38
	s_mov_b32 s39, 0
	s_delay_alu instid0(VALU_DEP_2) | instskip(NEXT) | instid1(VALU_DEP_1)
	v_lshl_add_u64 v[18:19], v[16:17], 3, s[44:45]
	v_add_nc_u64_e32 v[18:19], v[8:9], v[18:19]
.LBB1_31:                               ;   Parent Loop BB1_4 Depth=1
                                        ; =>  This Inner Loop Header: Depth=2
	v_add_nc_u32_e32 v2, v0, v16
	v_add_nc_u32_e32 v16, 0x400, v16
	s_delay_alu instid0(VALU_DEP_2) | instskip(NEXT) | instid1(VALU_DEP_2)
	v_mul_u64_e32 v[20:21], s[8:9], v[2:3]
	v_add_nc_u32_e32 v17, v0, v16
	s_delay_alu instid0(VALU_DEP_1) | instskip(SKIP_1) | instid1(VALU_DEP_3)
	v_cmp_le_i32_e32 vcc_lo, s16, v17
	s_or_b32 s39, vcc_lo, s39
	v_lshl_add_u64 v[20:21], v[20:21], 3, s[42:43]
	global_load_b64 v[28:29], v[20:21], off
	global_load_b64 v[30:31], v[18:19], off
	s_wait_loadcnt 0x1
	s_wait_xcnt 0x1
	v_pk_mul_f32 v[20:21], v[12:13], v[28:29] op_sel:[0,1] op_sel_hi:[1,0]
	s_delay_alu instid0(VALU_DEP_1) | instskip(SKIP_1) | instid1(VALU_DEP_2)
	v_pk_fma_f32 v[32:33], v[14:15], v[28:29], v[20:21]
	v_pk_fma_f32 v[20:21], v[14:15], v[28:29], v[20:21] neg_lo:[0,0,1] neg_hi:[0,0,1]
	v_mov_b32_e32 v21, v33
	s_wait_loadcnt 0x0
	s_delay_alu instid0(VALU_DEP_1)
	v_pk_add_f32 v[20:21], v[30:31], v[20:21]
	global_store_b64 v[18:19], v[20:21], off
	s_wait_xcnt 0x0
	v_add_nc_u64_e32 v[18:19], 0x2000, v[18:19]
	s_and_not1_b32 exec_lo, exec_lo, s39
	s_cbranch_execnz .LBB1_31
; %bb.32:                               ;   in Loop: Header=BB1_4 Depth=1
	s_or_b32 exec_lo, exec_lo, s39
	v_mov_b32_e32 v2, v16
.LBB1_33:                               ;   in Loop: Header=BB1_4 Depth=1
	s_or_b32 exec_lo, exec_lo, s26
	s_delay_alu instid0(VALU_DEP_1)
	v_mov_b64_e32 v[12:13], v[2:3]
.LBB1_34:                               ;   in Loop: Header=BB1_4 Depth=1
	s_or_b32 exec_lo, exec_lo, s25
	s_delay_alu instid0(SALU_CYCLE_1)
	s_mov_b32 s25, exec_lo
	v_cmpx_eq_u32_e64 s16, v17
	s_cbranch_execz .LBB1_2
; %bb.35:                               ;   in Loop: Header=BB1_4 Depth=1
	s_delay_alu instid0(VALU_DEP_2) | instskip(SKIP_4) | instid1(SALU_CYCLE_3)
	v_lshl_add_u64 v[10:11], v[12:13], 3, v[10:11]
	s_load_b64 s[42:43], s[36:37], 0x0
	global_load_b32 v2, v[10:11], off
	s_wait_kmcnt 0x0
	s_mul_f32 s26, s40, s43
	s_xor_b32 s26, s26, 0x80000000
	s_delay_alu instid0(SALU_CYCLE_1) | instskip(SKIP_1) | instid1(SALU_CYCLE_2)
	s_fmac_f32 s26, s38, s42
	s_wait_loadcnt 0x0
	v_add_f32_e32 v2, s26, v2
	global_store_b64 v[10:11], v[2:3], off
	s_branch .LBB1_2
.LBB1_36:
	s_endpgm
	.section	.rodata,"a",@progbits
	.p2align	6, 0x0
	.amdhsa_kernel _ZL18rocblas_her_kernelILi1024EfPK19rocblas_complex_numIfEPS1_EvbiT0_T1_lllT2_llli
		.amdhsa_group_segment_fixed_size 0
		.amdhsa_private_segment_fixed_size 0
		.amdhsa_kernarg_size 84
		.amdhsa_user_sgpr_count 2
		.amdhsa_user_sgpr_dispatch_ptr 0
		.amdhsa_user_sgpr_queue_ptr 0
		.amdhsa_user_sgpr_kernarg_segment_ptr 1
		.amdhsa_user_sgpr_dispatch_id 0
		.amdhsa_user_sgpr_kernarg_preload_length 0
		.amdhsa_user_sgpr_kernarg_preload_offset 0
		.amdhsa_user_sgpr_private_segment_size 0
		.amdhsa_wavefront_size32 1
		.amdhsa_uses_dynamic_stack 0
		.amdhsa_enable_private_segment 0
		.amdhsa_system_sgpr_workgroup_id_x 1
		.amdhsa_system_sgpr_workgroup_id_y 0
		.amdhsa_system_sgpr_workgroup_id_z 1
		.amdhsa_system_sgpr_workgroup_info 0
		.amdhsa_system_vgpr_workitem_id 0
		.amdhsa_next_free_vgpr 40
		.amdhsa_next_free_sgpr 54
		.amdhsa_named_barrier_count 0
		.amdhsa_reserve_vcc 1
		.amdhsa_float_round_mode_32 0
		.amdhsa_float_round_mode_16_64 0
		.amdhsa_float_denorm_mode_32 3
		.amdhsa_float_denorm_mode_16_64 3
		.amdhsa_fp16_overflow 0
		.amdhsa_memory_ordered 1
		.amdhsa_forward_progress 1
		.amdhsa_inst_pref_size 18
		.amdhsa_round_robin_scheduling 0
		.amdhsa_exception_fp_ieee_invalid_op 0
		.amdhsa_exception_fp_denorm_src 0
		.amdhsa_exception_fp_ieee_div_zero 0
		.amdhsa_exception_fp_ieee_overflow 0
		.amdhsa_exception_fp_ieee_underflow 0
		.amdhsa_exception_fp_ieee_inexact 0
		.amdhsa_exception_int_div_zero 0
	.end_amdhsa_kernel
	.section	.text._ZL18rocblas_her_kernelILi1024EfPK19rocblas_complex_numIfEPS1_EvbiT0_T1_lllT2_llli,"axG",@progbits,_ZL18rocblas_her_kernelILi1024EfPK19rocblas_complex_numIfEPS1_EvbiT0_T1_lllT2_llli,comdat
.Lfunc_end1:
	.size	_ZL18rocblas_her_kernelILi1024EfPK19rocblas_complex_numIfEPS1_EvbiT0_T1_lllT2_llli, .Lfunc_end1-_ZL18rocblas_her_kernelILi1024EfPK19rocblas_complex_numIfEPS1_EvbiT0_T1_lllT2_llli
                                        ; -- End function
	.set _ZL18rocblas_her_kernelILi1024EfPK19rocblas_complex_numIfEPS1_EvbiT0_T1_lllT2_llli.num_vgpr, 40
	.set _ZL18rocblas_her_kernelILi1024EfPK19rocblas_complex_numIfEPS1_EvbiT0_T1_lllT2_llli.num_agpr, 0
	.set _ZL18rocblas_her_kernelILi1024EfPK19rocblas_complex_numIfEPS1_EvbiT0_T1_lllT2_llli.numbered_sgpr, 54
	.set _ZL18rocblas_her_kernelILi1024EfPK19rocblas_complex_numIfEPS1_EvbiT0_T1_lllT2_llli.num_named_barrier, 0
	.set _ZL18rocblas_her_kernelILi1024EfPK19rocblas_complex_numIfEPS1_EvbiT0_T1_lllT2_llli.private_seg_size, 0
	.set _ZL18rocblas_her_kernelILi1024EfPK19rocblas_complex_numIfEPS1_EvbiT0_T1_lllT2_llli.uses_vcc, 1
	.set _ZL18rocblas_her_kernelILi1024EfPK19rocblas_complex_numIfEPS1_EvbiT0_T1_lllT2_llli.uses_flat_scratch, 0
	.set _ZL18rocblas_her_kernelILi1024EfPK19rocblas_complex_numIfEPS1_EvbiT0_T1_lllT2_llli.has_dyn_sized_stack, 0
	.set _ZL18rocblas_her_kernelILi1024EfPK19rocblas_complex_numIfEPS1_EvbiT0_T1_lllT2_llli.has_recursion, 0
	.set _ZL18rocblas_her_kernelILi1024EfPK19rocblas_complex_numIfEPS1_EvbiT0_T1_lllT2_llli.has_indirect_call, 0
	.section	.AMDGPU.csdata,"",@progbits
; Kernel info:
; codeLenInByte = 2236
; TotalNumSgprs: 56
; NumVgprs: 40
; ScratchSize: 0
; MemoryBound: 0
; FloatMode: 240
; IeeeMode: 1
; LDSByteSize: 0 bytes/workgroup (compile time only)
; SGPRBlocks: 0
; VGPRBlocks: 2
; NumSGPRsForWavesPerEU: 56
; NumVGPRsForWavesPerEU: 40
; NamedBarCnt: 0
; Occupancy: 16
; WaveLimiterHint : 0
; COMPUTE_PGM_RSRC2:SCRATCH_EN: 0
; COMPUTE_PGM_RSRC2:USER_SGPR: 2
; COMPUTE_PGM_RSRC2:TRAP_HANDLER: 0
; COMPUTE_PGM_RSRC2:TGID_X_EN: 1
; COMPUTE_PGM_RSRC2:TGID_Y_EN: 0
; COMPUTE_PGM_RSRC2:TGID_Z_EN: 1
; COMPUTE_PGM_RSRC2:TIDIG_COMP_CNT: 0
	.section	.text._ZL18rocblas_her_kernelILi1024EPKdPK19rocblas_complex_numIdEPS3_EvbiT0_T1_lllT2_llli,"axG",@progbits,_ZL18rocblas_her_kernelILi1024EPKdPK19rocblas_complex_numIdEPS3_EvbiT0_T1_lllT2_llli,comdat
	.globl	_ZL18rocblas_her_kernelILi1024EPKdPK19rocblas_complex_numIdEPS3_EvbiT0_T1_lllT2_llli ; -- Begin function _ZL18rocblas_her_kernelILi1024EPKdPK19rocblas_complex_numIdEPS3_EvbiT0_T1_lllT2_llli
	.p2align	8
	.type	_ZL18rocblas_her_kernelILi1024EPKdPK19rocblas_complex_numIdEPS3_EvbiT0_T1_lllT2_llli,@function
_ZL18rocblas_her_kernelILi1024EPKdPK19rocblas_complex_numIdEPS3_EvbiT0_T1_lllT2_llli: ; @_ZL18rocblas_her_kernelILi1024EPKdPK19rocblas_complex_numIdEPS3_EvbiT0_T1_lllT2_llli
; %bb.0:
	s_load_b32 s33, s[0:1], 0x50
	s_bfe_u32 s2, ttmp6, 0x40014
	s_lshr_b32 s3, ttmp7, 16
	s_add_co_i32 s2, s2, 1
	s_bfe_u32 s4, ttmp6, 0x40008
	s_mul_i32 s2, s3, s2
	s_getreg_b32 s24, hwreg(HW_REG_IB_STS2, 6, 4)
	s_add_co_i32 s4, s4, s2
	s_cmp_eq_u32 s24, 0
	s_mov_b32 s21, 0
	s_cselect_b32 s20, s3, s4
	s_wait_kmcnt 0x0
	s_cmp_ge_u32 s20, s33
	s_cbranch_scc1 .LBB2_19
; %bb.1:
	s_clause 0x2
	s_load_b512 s[4:19], s[0:1], 0x8
	s_load_b64 s[2:3], s[0:1], 0x0
	s_load_b64 s[22:23], s[0:1], 0x48
	s_wait_xcnt 0x0
	v_cmp_eq_u32_e64 s0, 0, v0
	s_wait_kmcnt 0x0
	v_cmp_gt_i32_e32 vcc_lo, s3, v0
	v_mov_b32_e32 v5, 0
	s_bitcmp1_b32 s2, 0
	s_cselect_b32 s1, -1, 0
	s_bfe_u32 s2, ttmp6, 0x4000c
	s_delay_alu instid0(VALU_DEP_1)
	v_mov_b32_e32 v1, v5
	s_add_co_i32 s2, s2, 1
	s_and_b32 s25, ttmp6, 15
	s_mul_i32 s2, ttmp9, s2
	s_lshl_b64 s[8:9], s[8:9], 4
	v_mul_u64_e32 v[2:3], s[10:11], v[0:1]
	s_lshl_b64 s[18:19], s[18:19], 4
	s_xor_b32 s36, s1, -1
	s_add_co_i32 s25, s25, s2
	s_cmp_eq_u32 s24, 0
	s_add_nc_u64 s[6:7], s[6:7], s[8:9]
	s_cselect_b32 s8, ttmp9, s25
	v_cndmask_b32_e32 v1, 0, v0, vcc_lo
	s_ashr_i32 s9, s8, 31
	s_add_co_i32 s24, s8, 1
	s_mul_u64 s[16:17], s[16:17], s[8:9]
	s_ashr_i32 s25, s24, 31
	s_lshl_b64 s[16:17], s[16:17], 4
	v_dual_lshlrev_b32 v4, 4, v1 :: v_dual_add_nc_u32 v1, s24, v0
	s_lshl_b64 s[26:27], s[24:25], 4
	s_add_nc_u64 s[28:29], s[16:17], s[18:19]
	s_add_nc_u64 s[18:19], s[14:15], s[18:19]
	;; [unrolled: 1-line block ×3, first 2 shown]
	v_add_nc_u64_e32 v[6:7], s[18:19], v[4:5]
	s_add_nc_u64 s[18:19], s[14:15], s[26:27]
	s_add_nc_u64 s[14:15], s[14:15], s[28:29]
	v_add_nc_u64_e32 v[8:9], s[18:19], v[4:5]
	v_add_nc_u64_e32 v[12:13], s[14:15], v[4:5]
	v_cmp_gt_i32_e64 s1, s3, v1
	v_cmp_gt_i32_e64 s2, s8, v0
	v_add_nc_u64_e32 v[6:7], s[16:17], v[6:7]
	s_mul_u64 s[18:19], s[10:11], s[8:9]
	s_lshl_b64 s[14:15], s[22:23], 4
	v_add_nc_u64_e32 v[8:9], 8, v[8:9]
	v_add_nc_u64_e32 v[12:13], 8, v[12:13]
	s_lshl_b64 s[24:25], s[12:13], 4
	v_lshl_add_u64 v[2:3], v[2:3], 4, s[6:7]
	s_lshl_b64 s[26:27], s[10:11], 14
	s_lshl_b64 s[28:29], s[18:19], 4
	s_delay_alu instid0(VALU_DEP_1)
	v_add_nc_u64_e32 v[10:11], 8, v[2:3]
	s_branch .LBB2_4
.LBB2_2:                                ;   in Loop: Header=BB2_4 Depth=1
	s_wait_xcnt 0x0
	s_or_b32 exec_lo, exec_lo, s30
.LBB2_3:                                ;   in Loop: Header=BB2_4 Depth=1
	s_add_co_i32 s20, s20, 0x10000
	s_delay_alu instid0(SALU_CYCLE_1)
	s_cmp_lt_u32 s20, s33
	s_cbranch_scc0 .LBB2_19
.LBB2_4:                                ; =>This Loop Header: Depth=1
                                        ;     Child Loop BB2_10 Depth 2
                                        ;     Child Loop BB2_15 Depth 2
	global_load_b64 v[2:3], v5, s[4:5]
	s_wait_loadcnt 0x0
	v_cmp_eq_f64_e32 vcc_lo, 0, v[2:3]
	s_cbranch_vccnz .LBB2_3
; %bb.5:                                ;   in Loop: Header=BB2_4 Depth=1
	s_mul_u64 s[16:17], s[12:13], s[20:21]
	s_mul_u64 s[38:39], s[22:23], s[20:21]
	s_lshl_b64 s[16:17], s[16:17], 4
	v_lshl_add_u64 v[18:19], s[38:39], 4, v[6:7]
	s_add_nc_u64 s[34:35], s[6:7], s[16:17]
	s_and_b32 vcc_lo, exec_lo, s36
	s_add_nc_u64 s[30:31], s[34:35], s[28:29]
	s_mov_b32 s37, -1
	s_load_b128 s[16:19], s[30:31], 0x0
	s_wait_xcnt 0x0
	s_mul_u64 s[30:31], s[14:15], s[20:21]
	s_wait_kmcnt 0x0
	v_mul_f64_e64 v[14:15], s[18:19], 0
	v_mul_f64_e32 v[16:17], s[18:19], v[2:3]
	s_delay_alu instid0(VALU_DEP_2) | instskip(NEXT) | instid1(VALU_DEP_2)
	v_fmac_f64_e32 v[14:15], s[16:17], v[2:3]
	v_fma_f64 v[16:17], s[16:17], 0, -v[16:17]
	s_cbranch_vccz .LBB2_12
; %bb.6:                                ;   in Loop: Header=BB2_4 Depth=1
	s_and_saveexec_b32 s37, s0
	s_cbranch_execz .LBB2_8
; %bb.7:                                ;   in Loop: Header=BB2_4 Depth=1
	v_lshl_add_u64 v[20:21], s[8:9], 4, v[18:19]
	s_delay_alu instid0(VALU_DEP_2) | instskip(SKIP_3) | instid1(VALU_DEP_1)
	v_dual_mul_f64 v[22:23], s[18:19], v[16:17] :: v_dual_mov_b32 v4, v5
	global_load_b64 v[2:3], v[20:21], off
	v_fma_f64 v[22:23], s[16:17], v[14:15], -v[22:23]
	s_wait_loadcnt 0x0
	v_add_f64_e32 v[2:3], v[22:23], v[2:3]
	global_store_b128 v[20:21], v[2:5], off
.LBB2_8:                                ;   in Loop: Header=BB2_4 Depth=1
	s_wait_xcnt 0x0
	s_or_b32 exec_lo, exec_lo, s37
	s_and_saveexec_b32 s37, s1
	s_cbranch_execz .LBB2_11
; %bb.9:                                ;   in Loop: Header=BB2_4 Depth=1
	v_add_nc_u64_e32 v[2:3], s[30:31], v[8:9]
	v_mov_b32_e32 v20, v1
	s_mov_b32 s38, 0
.LBB2_10:                               ;   Parent Loop BB2_4 Depth=1
                                        ; =>  This Inner Loop Header: Depth=2
	s_delay_alu instid0(VALU_DEP_1) | instskip(NEXT) | instid1(VALU_DEP_1)
	v_ashrrev_i32_e32 v21, 31, v20
	v_mul_u64_e32 v[22:23], s[10:11], v[20:21]
	v_add_nc_u32_e32 v20, 0x400, v20
	s_delay_alu instid0(VALU_DEP_1) | instskip(SKIP_1) | instid1(VALU_DEP_3)
	v_cmp_le_i32_e32 vcc_lo, s3, v20
	s_or_b32 s38, vcc_lo, s38
	v_lshl_add_u64 v[30:31], v[22:23], 4, s[34:35]
	global_load_b128 v[22:25], v[30:31], off
	global_load_b128 v[26:29], v[2:3], off offset:-8
	s_wait_loadcnt 0x1
	s_wait_xcnt 0x1
	v_mul_f64_e32 v[30:31], v[16:17], v[24:25]
	v_mul_f64_e32 v[24:25], v[14:15], v[24:25]
	s_delay_alu instid0(VALU_DEP_2) | instskip(NEXT) | instid1(VALU_DEP_2)
	v_fma_f64 v[30:31], v[14:15], v[22:23], -v[30:31]
	v_fmac_f64_e32 v[24:25], v[16:17], v[22:23]
	s_wait_loadcnt 0x0
	s_delay_alu instid0(VALU_DEP_2) | instskip(NEXT) | instid1(VALU_DEP_2)
	v_add_f64_e32 v[22:23], v[26:27], v[30:31]
	v_add_f64_e32 v[24:25], v[24:25], v[28:29]
	global_store_b128 v[2:3], v[22:25], off offset:-8
	s_wait_xcnt 0x0
	v_add_nc_u64_e32 v[2:3], 0x4000, v[2:3]
	s_and_not1_b32 exec_lo, exec_lo, s38
	s_cbranch_execnz .LBB2_10
.LBB2_11:                               ;   in Loop: Header=BB2_4 Depth=1
	s_or_b32 exec_lo, exec_lo, s37
	s_mov_b32 s37, 0
.LBB2_12:                               ;   in Loop: Header=BB2_4 Depth=1
	s_delay_alu instid0(SALU_CYCLE_1)
	s_and_b32 vcc_lo, exec_lo, s37
	s_cbranch_vccz .LBB2_3
; %bb.13:                               ;   in Loop: Header=BB2_4 Depth=1
	v_mov_b64_e32 v[2:3], 0
	v_mov_b32_e32 v22, v0
	s_and_saveexec_b32 s34, s2
	s_cbranch_execz .LBB2_17
; %bb.14:                               ;   in Loop: Header=BB2_4 Depth=1
	v_mad_nc_u64_u32 v[2:3], s24, s20, v[10:11]
	v_add_nc_u64_e32 v[20:21], s[30:31], v[12:13]
	s_mov_b32 s30, 0
	s_mov_b32 s31, 0
	s_delay_alu instid0(VALU_DEP_2)
	v_mad_u32 v3, s25, s20, v3
.LBB2_15:                               ;   Parent Loop BB2_4 Depth=1
                                        ; =>  This Inner Loop Header: Depth=2
	global_load_b128 v[22:25], v[2:3], off offset:-8
	global_load_b128 v[26:29], v[20:21], off offset:-8
	s_addk_co_i32 s31, 0x400
	s_wait_xcnt 0x1
	v_add_nc_u64_e32 v[2:3], s[26:27], v[2:3]
	s_wait_loadcnt 0x1
	v_dual_mul_f64 v[30:31], v[16:17], v[24:25] :: v_dual_mov_b32 v4, s31
	v_mul_f64_e32 v[32:33], v[14:15], v[24:25]
	s_delay_alu instid0(VALU_DEP_2) | instskip(NEXT) | instid1(VALU_DEP_2)
	v_fma_f64 v[24:25], v[14:15], v[22:23], -v[30:31]
	v_fmac_f64_e32 v[32:33], v[16:17], v[22:23]
	v_add_nc_u32_e32 v22, s31, v0
	s_delay_alu instid0(VALU_DEP_1) | instskip(SKIP_2) | instid1(VALU_DEP_4)
	v_cmp_le_i32_e32 vcc_lo, s8, v22
	s_or_b32 s30, vcc_lo, s30
	s_wait_loadcnt 0x0
	v_add_f64_e32 v[24:25], v[26:27], v[24:25]
	s_delay_alu instid0(VALU_DEP_4)
	v_add_f64_e32 v[26:27], v[32:33], v[28:29]
	global_store_b128 v[20:21], v[24:27], off offset:-8
	s_wait_xcnt 0x0
	v_add_nc_u64_e32 v[20:21], 0x4000, v[20:21]
	s_and_not1_b32 exec_lo, exec_lo, s30
	s_cbranch_execnz .LBB2_15
; %bb.16:                               ;   in Loop: Header=BB2_4 Depth=1
	s_or_b32 exec_lo, exec_lo, s30
	v_mov_b64_e32 v[2:3], v[4:5]
.LBB2_17:                               ;   in Loop: Header=BB2_4 Depth=1
	s_or_b32 exec_lo, exec_lo, s34
	s_delay_alu instid0(SALU_CYCLE_1)
	s_mov_b32 s30, exec_lo
	v_cmpx_eq_u32_e64 s8, v22
	s_cbranch_execz .LBB2_2
; %bb.18:                               ;   in Loop: Header=BB2_4 Depth=1
	s_delay_alu instid0(VALU_DEP_2) | instskip(SKIP_4) | instid1(VALU_DEP_1)
	v_lshl_add_u64 v[18:19], v[2:3], 4, v[18:19]
	v_dual_mul_f64 v[16:17], s[18:19], v[16:17] :: v_dual_mov_b32 v4, v5
	global_load_b64 v[2:3], v[18:19], off
	v_fma_f64 v[14:15], s[16:17], v[14:15], -v[16:17]
	s_wait_loadcnt 0x0
	v_add_f64_e32 v[2:3], v[14:15], v[2:3]
	global_store_b128 v[18:19], v[2:5], off
	s_branch .LBB2_2
.LBB2_19:
	s_endpgm
	.section	.rodata,"a",@progbits
	.p2align	6, 0x0
	.amdhsa_kernel _ZL18rocblas_her_kernelILi1024EPKdPK19rocblas_complex_numIdEPS3_EvbiT0_T1_lllT2_llli
		.amdhsa_group_segment_fixed_size 0
		.amdhsa_private_segment_fixed_size 0
		.amdhsa_kernarg_size 84
		.amdhsa_user_sgpr_count 2
		.amdhsa_user_sgpr_dispatch_ptr 0
		.amdhsa_user_sgpr_queue_ptr 0
		.amdhsa_user_sgpr_kernarg_segment_ptr 1
		.amdhsa_user_sgpr_dispatch_id 0
		.amdhsa_user_sgpr_kernarg_preload_length 0
		.amdhsa_user_sgpr_kernarg_preload_offset 0
		.amdhsa_user_sgpr_private_segment_size 0
		.amdhsa_wavefront_size32 1
		.amdhsa_uses_dynamic_stack 0
		.amdhsa_enable_private_segment 0
		.amdhsa_system_sgpr_workgroup_id_x 1
		.amdhsa_system_sgpr_workgroup_id_y 0
		.amdhsa_system_sgpr_workgroup_id_z 1
		.amdhsa_system_sgpr_workgroup_info 0
		.amdhsa_system_vgpr_workitem_id 0
		.amdhsa_next_free_vgpr 34
		.amdhsa_next_free_sgpr 40
		.amdhsa_named_barrier_count 0
		.amdhsa_reserve_vcc 1
		.amdhsa_float_round_mode_32 0
		.amdhsa_float_round_mode_16_64 0
		.amdhsa_float_denorm_mode_32 3
		.amdhsa_float_denorm_mode_16_64 3
		.amdhsa_fp16_overflow 0
		.amdhsa_memory_ordered 1
		.amdhsa_forward_progress 1
		.amdhsa_inst_pref_size 8
		.amdhsa_round_robin_scheduling 0
		.amdhsa_exception_fp_ieee_invalid_op 0
		.amdhsa_exception_fp_denorm_src 0
		.amdhsa_exception_fp_ieee_div_zero 0
		.amdhsa_exception_fp_ieee_overflow 0
		.amdhsa_exception_fp_ieee_underflow 0
		.amdhsa_exception_fp_ieee_inexact 0
		.amdhsa_exception_int_div_zero 0
	.end_amdhsa_kernel
	.section	.text._ZL18rocblas_her_kernelILi1024EPKdPK19rocblas_complex_numIdEPS3_EvbiT0_T1_lllT2_llli,"axG",@progbits,_ZL18rocblas_her_kernelILi1024EPKdPK19rocblas_complex_numIdEPS3_EvbiT0_T1_lllT2_llli,comdat
.Lfunc_end2:
	.size	_ZL18rocblas_her_kernelILi1024EPKdPK19rocblas_complex_numIdEPS3_EvbiT0_T1_lllT2_llli, .Lfunc_end2-_ZL18rocblas_her_kernelILi1024EPKdPK19rocblas_complex_numIdEPS3_EvbiT0_T1_lllT2_llli
                                        ; -- End function
	.set _ZL18rocblas_her_kernelILi1024EPKdPK19rocblas_complex_numIdEPS3_EvbiT0_T1_lllT2_llli.num_vgpr, 34
	.set _ZL18rocblas_her_kernelILi1024EPKdPK19rocblas_complex_numIdEPS3_EvbiT0_T1_lllT2_llli.num_agpr, 0
	.set _ZL18rocblas_her_kernelILi1024EPKdPK19rocblas_complex_numIdEPS3_EvbiT0_T1_lllT2_llli.numbered_sgpr, 40
	.set _ZL18rocblas_her_kernelILi1024EPKdPK19rocblas_complex_numIdEPS3_EvbiT0_T1_lllT2_llli.num_named_barrier, 0
	.set _ZL18rocblas_her_kernelILi1024EPKdPK19rocblas_complex_numIdEPS3_EvbiT0_T1_lllT2_llli.private_seg_size, 0
	.set _ZL18rocblas_her_kernelILi1024EPKdPK19rocblas_complex_numIdEPS3_EvbiT0_T1_lllT2_llli.uses_vcc, 1
	.set _ZL18rocblas_her_kernelILi1024EPKdPK19rocblas_complex_numIdEPS3_EvbiT0_T1_lllT2_llli.uses_flat_scratch, 0
	.set _ZL18rocblas_her_kernelILi1024EPKdPK19rocblas_complex_numIdEPS3_EvbiT0_T1_lllT2_llli.has_dyn_sized_stack, 0
	.set _ZL18rocblas_her_kernelILi1024EPKdPK19rocblas_complex_numIdEPS3_EvbiT0_T1_lllT2_llli.has_recursion, 0
	.set _ZL18rocblas_her_kernelILi1024EPKdPK19rocblas_complex_numIdEPS3_EvbiT0_T1_lllT2_llli.has_indirect_call, 0
	.section	.AMDGPU.csdata,"",@progbits
; Kernel info:
; codeLenInByte = 1020
; TotalNumSgprs: 42
; NumVgprs: 34
; ScratchSize: 0
; MemoryBound: 0
; FloatMode: 240
; IeeeMode: 1
; LDSByteSize: 0 bytes/workgroup (compile time only)
; SGPRBlocks: 0
; VGPRBlocks: 2
; NumSGPRsForWavesPerEU: 42
; NumVGPRsForWavesPerEU: 34
; NamedBarCnt: 0
; Occupancy: 16
; WaveLimiterHint : 0
; COMPUTE_PGM_RSRC2:SCRATCH_EN: 0
; COMPUTE_PGM_RSRC2:USER_SGPR: 2
; COMPUTE_PGM_RSRC2:TRAP_HANDLER: 0
; COMPUTE_PGM_RSRC2:TGID_X_EN: 1
; COMPUTE_PGM_RSRC2:TGID_Y_EN: 0
; COMPUTE_PGM_RSRC2:TGID_Z_EN: 1
; COMPUTE_PGM_RSRC2:TIDIG_COMP_CNT: 0
	.section	.text._ZL18rocblas_her_kernelILi1024EdPK19rocblas_complex_numIdEPS1_EvbiT0_T1_lllT2_llli,"axG",@progbits,_ZL18rocblas_her_kernelILi1024EdPK19rocblas_complex_numIdEPS1_EvbiT0_T1_lllT2_llli,comdat
	.globl	_ZL18rocblas_her_kernelILi1024EdPK19rocblas_complex_numIdEPS1_EvbiT0_T1_lllT2_llli ; -- Begin function _ZL18rocblas_her_kernelILi1024EdPK19rocblas_complex_numIdEPS1_EvbiT0_T1_lllT2_llli
	.p2align	8
	.type	_ZL18rocblas_her_kernelILi1024EdPK19rocblas_complex_numIdEPS1_EvbiT0_T1_lllT2_llli,@function
_ZL18rocblas_her_kernelILi1024EdPK19rocblas_complex_numIdEPS1_EvbiT0_T1_lllT2_llli: ; @_ZL18rocblas_her_kernelILi1024EdPK19rocblas_complex_numIdEPS1_EvbiT0_T1_lllT2_llli
; %bb.0:
	s_load_b32 s33, s[0:1], 0x50
	s_bfe_u32 s2, ttmp6, 0x40014
	s_lshr_b32 s3, ttmp7, 16
	s_add_co_i32 s2, s2, 1
	s_bfe_u32 s4, ttmp6, 0x40008
	s_mul_i32 s2, s3, s2
	s_getreg_b32 s24, hwreg(HW_REG_IB_STS2, 6, 4)
	s_add_co_i32 s4, s4, s2
	s_cmp_eq_u32 s24, 0
	s_mov_b32 s21, 0
	s_cselect_b32 s20, s3, s4
	s_wait_kmcnt 0x0
	s_cmp_ge_u32 s20, s33
	s_cbranch_scc1 .LBB3_19
; %bb.1:
	s_clause 0x2
	s_load_b64 s[2:3], s[0:1], 0x0
	s_load_b512 s[4:19], s[0:1], 0x8
	s_load_b64 s[22:23], s[0:1], 0x48
	s_wait_xcnt 0x0
	v_cmp_eq_u32_e64 s0, 0, v0
	s_wait_kmcnt 0x0
	v_cmp_gt_i32_e32 vcc_lo, s3, v0
	v_mov_b32_e32 v5, 0
	s_bitcmp1_b32 s2, 0
	v_cmp_neq_f64_e64 s37, s[4:5], 0
	s_cselect_b32 s1, -1, 0
	s_bfe_u32 s25, ttmp6, 0x4000c
	v_mov_b32_e32 v1, v5
	s_add_co_i32 s25, s25, 1
	s_and_b32 s2, ttmp6, 15
	s_xor_b32 s36, s1, -1
	s_mul_i32 s1, ttmp9, s25
	v_mul_u64_e32 v[2:3], s[10:11], v[0:1]
	s_lshl_b64 s[8:9], s[8:9], 4
	s_lshl_b64 s[18:19], s[18:19], 4
	s_add_co_i32 s2, s2, s1
	s_cmp_eq_u32 s24, 0
	s_add_nc_u64 s[6:7], s[6:7], s[8:9]
	s_cselect_b32 s8, ttmp9, s2
	v_cndmask_b32_e32 v1, 0, v0, vcc_lo
	s_ashr_i32 s9, s8, 31
	s_add_co_i32 s26, s8, 1
	s_mul_u64 s[16:17], s[16:17], s[8:9]
	s_ashr_i32 s27, s26, 31
	s_lshl_b64 s[16:17], s[16:17], 4
	s_add_nc_u64 s[24:25], s[14:15], s[18:19]
	s_lshl_b64 s[28:29], s[26:27], 4
	s_add_nc_u64 s[18:19], s[16:17], s[18:19]
	v_dual_lshlrev_b32 v4, 4, v1 :: v_dual_add_nc_u32 v1, s26, v0
	s_add_nc_u64 s[28:29], s[18:19], s[28:29]
	v_cmp_gt_i32_e64 s1, s8, v0
	s_add_nc_u64 s[28:29], s[14:15], s[28:29]
	s_add_nc_u64 s[14:15], s[14:15], s[18:19]
	v_add_nc_u64_e32 v[6:7], s[24:25], v[4:5]
	v_add_nc_u64_e32 v[8:9], s[28:29], v[4:5]
	;; [unrolled: 1-line block ×3, first 2 shown]
	v_cmp_gt_i32_e64 s2, s3, v1
	s_mul_u64 s[18:19], s[10:11], s[8:9]
	s_lshl_b64 s[24:25], s[22:23], 4
	s_lshl_b64 s[14:15], s[12:13], 4
	v_add_nc_u64_e32 v[6:7], s[16:17], v[6:7]
	v_add_nc_u64_e32 v[8:9], 8, v[8:9]
	;; [unrolled: 1-line block ×3, first 2 shown]
	v_lshl_add_u64 v[2:3], v[2:3], 4, s[6:7]
	s_lshl_b64 s[26:27], s[10:11], 14
	s_lshl_b64 s[28:29], s[18:19], 4
	s_delay_alu instid0(VALU_DEP_1)
	v_add_nc_u64_e32 v[10:11], 8, v[2:3]
	s_branch .LBB3_4
.LBB3_2:                                ;   in Loop: Header=BB3_4 Depth=1
	s_wait_xcnt 0x0
	s_or_b32 exec_lo, exec_lo, s30
.LBB3_3:                                ;   in Loop: Header=BB3_4 Depth=1
	s_add_co_i32 s20, s20, 0x10000
	s_delay_alu instid0(SALU_CYCLE_1)
	s_cmp_lt_u32 s20, s33
	s_cbranch_scc0 .LBB3_19
.LBB3_4:                                ; =>This Loop Header: Depth=1
                                        ;     Child Loop BB3_10 Depth 2
                                        ;     Child Loop BB3_15 Depth 2
	s_and_not1_b32 vcc_lo, exec_lo, s37
	s_cbranch_vccnz .LBB3_3
; %bb.5:                                ;   in Loop: Header=BB3_4 Depth=1
	s_mul_u64 s[16:17], s[12:13], s[20:21]
	s_mul_u64 s[38:39], s[22:23], s[20:21]
	s_lshl_b64 s[16:17], s[16:17], 4
	v_lshl_add_u64 v[18:19], s[38:39], 4, v[6:7]
	s_add_nc_u64 s[34:35], s[6:7], s[16:17]
	s_and_b32 vcc_lo, exec_lo, s36
	s_add_nc_u64 s[30:31], s[34:35], s[28:29]
	s_mov_b32 s38, -1
	s_load_b128 s[16:19], s[30:31], 0x0
	s_wait_xcnt 0x0
	s_mul_u64 s[30:31], s[24:25], s[20:21]
	s_wait_kmcnt 0x0
	v_mul_f64_e64 v[14:15], s[18:19], 0
	v_mul_f64_e64 v[2:3], s[4:5], s[18:19]
	s_delay_alu instid0(VALU_DEP_2) | instskip(NEXT) | instid1(VALU_DEP_2)
	v_fmac_f64_e64 v[14:15], s[4:5], s[16:17]
	v_fma_f64 v[16:17], s[16:17], 0, -v[2:3]
	s_cbranch_vccz .LBB3_12
; %bb.6:                                ;   in Loop: Header=BB3_4 Depth=1
	s_and_saveexec_b32 s38, s0
	s_cbranch_execz .LBB3_8
; %bb.7:                                ;   in Loop: Header=BB3_4 Depth=1
	v_lshl_add_u64 v[20:21], s[8:9], 4, v[18:19]
	s_delay_alu instid0(VALU_DEP_2) | instskip(SKIP_3) | instid1(VALU_DEP_1)
	v_dual_mul_f64 v[22:23], s[18:19], v[16:17] :: v_dual_mov_b32 v4, v5
	global_load_b64 v[2:3], v[20:21], off
	v_fma_f64 v[22:23], s[16:17], v[14:15], -v[22:23]
	s_wait_loadcnt 0x0
	v_add_f64_e32 v[2:3], v[22:23], v[2:3]
	global_store_b128 v[20:21], v[2:5], off
.LBB3_8:                                ;   in Loop: Header=BB3_4 Depth=1
	s_wait_xcnt 0x0
	s_or_b32 exec_lo, exec_lo, s38
	s_and_saveexec_b32 s38, s2
	s_cbranch_execz .LBB3_11
; %bb.9:                                ;   in Loop: Header=BB3_4 Depth=1
	v_add_nc_u64_e32 v[2:3], s[30:31], v[8:9]
	v_mov_b32_e32 v20, v1
	s_mov_b32 s39, 0
.LBB3_10:                               ;   Parent Loop BB3_4 Depth=1
                                        ; =>  This Inner Loop Header: Depth=2
	s_delay_alu instid0(VALU_DEP_1) | instskip(NEXT) | instid1(VALU_DEP_1)
	v_ashrrev_i32_e32 v21, 31, v20
	v_mul_u64_e32 v[22:23], s[10:11], v[20:21]
	v_add_nc_u32_e32 v20, 0x400, v20
	s_delay_alu instid0(VALU_DEP_1) | instskip(SKIP_1) | instid1(VALU_DEP_3)
	v_cmp_le_i32_e32 vcc_lo, s3, v20
	s_or_b32 s39, vcc_lo, s39
	v_lshl_add_u64 v[30:31], v[22:23], 4, s[34:35]
	global_load_b128 v[22:25], v[30:31], off
	global_load_b128 v[26:29], v[2:3], off offset:-8
	s_wait_loadcnt 0x1
	s_wait_xcnt 0x1
	v_mul_f64_e32 v[30:31], v[16:17], v[24:25]
	v_mul_f64_e32 v[24:25], v[14:15], v[24:25]
	s_delay_alu instid0(VALU_DEP_2) | instskip(NEXT) | instid1(VALU_DEP_2)
	v_fma_f64 v[30:31], v[14:15], v[22:23], -v[30:31]
	v_fmac_f64_e32 v[24:25], v[16:17], v[22:23]
	s_wait_loadcnt 0x0
	s_delay_alu instid0(VALU_DEP_2) | instskip(NEXT) | instid1(VALU_DEP_2)
	v_add_f64_e32 v[22:23], v[26:27], v[30:31]
	v_add_f64_e32 v[24:25], v[24:25], v[28:29]
	global_store_b128 v[2:3], v[22:25], off offset:-8
	s_wait_xcnt 0x0
	v_add_nc_u64_e32 v[2:3], 0x4000, v[2:3]
	s_and_not1_b32 exec_lo, exec_lo, s39
	s_cbranch_execnz .LBB3_10
.LBB3_11:                               ;   in Loop: Header=BB3_4 Depth=1
	s_or_b32 exec_lo, exec_lo, s38
	s_mov_b32 s38, 0
.LBB3_12:                               ;   in Loop: Header=BB3_4 Depth=1
	s_delay_alu instid0(SALU_CYCLE_1)
	s_and_b32 vcc_lo, exec_lo, s38
	s_cbranch_vccz .LBB3_3
; %bb.13:                               ;   in Loop: Header=BB3_4 Depth=1
	v_mov_b64_e32 v[2:3], 0
	v_mov_b32_e32 v22, v0
	s_and_saveexec_b32 s34, s1
	s_cbranch_execz .LBB3_17
; %bb.14:                               ;   in Loop: Header=BB3_4 Depth=1
	v_mad_nc_u64_u32 v[2:3], s14, s20, v[10:11]
	v_add_nc_u64_e32 v[20:21], s[30:31], v[12:13]
	s_mov_b32 s30, 0
	s_mov_b32 s31, 0
	s_delay_alu instid0(VALU_DEP_2)
	v_mad_u32 v3, s15, s20, v3
.LBB3_15:                               ;   Parent Loop BB3_4 Depth=1
                                        ; =>  This Inner Loop Header: Depth=2
	global_load_b128 v[22:25], v[2:3], off offset:-8
	global_load_b128 v[26:29], v[20:21], off offset:-8
	s_addk_co_i32 s31, 0x400
	s_wait_xcnt 0x1
	v_add_nc_u64_e32 v[2:3], s[26:27], v[2:3]
	s_wait_loadcnt 0x1
	v_dual_mul_f64 v[30:31], v[16:17], v[24:25] :: v_dual_mov_b32 v4, s31
	v_mul_f64_e32 v[32:33], v[14:15], v[24:25]
	s_delay_alu instid0(VALU_DEP_2) | instskip(NEXT) | instid1(VALU_DEP_2)
	v_fma_f64 v[24:25], v[14:15], v[22:23], -v[30:31]
	v_fmac_f64_e32 v[32:33], v[16:17], v[22:23]
	v_add_nc_u32_e32 v22, s31, v0
	s_delay_alu instid0(VALU_DEP_1) | instskip(SKIP_2) | instid1(VALU_DEP_4)
	v_cmp_le_i32_e32 vcc_lo, s8, v22
	s_or_b32 s30, vcc_lo, s30
	s_wait_loadcnt 0x0
	v_add_f64_e32 v[24:25], v[26:27], v[24:25]
	s_delay_alu instid0(VALU_DEP_4)
	v_add_f64_e32 v[26:27], v[32:33], v[28:29]
	global_store_b128 v[20:21], v[24:27], off offset:-8
	s_wait_xcnt 0x0
	v_add_nc_u64_e32 v[20:21], 0x4000, v[20:21]
	s_and_not1_b32 exec_lo, exec_lo, s30
	s_cbranch_execnz .LBB3_15
; %bb.16:                               ;   in Loop: Header=BB3_4 Depth=1
	s_or_b32 exec_lo, exec_lo, s30
	v_mov_b64_e32 v[2:3], v[4:5]
.LBB3_17:                               ;   in Loop: Header=BB3_4 Depth=1
	s_or_b32 exec_lo, exec_lo, s34
	s_delay_alu instid0(SALU_CYCLE_1)
	s_mov_b32 s30, exec_lo
	v_cmpx_eq_u32_e64 s8, v22
	s_cbranch_execz .LBB3_2
; %bb.18:                               ;   in Loop: Header=BB3_4 Depth=1
	s_delay_alu instid0(VALU_DEP_2) | instskip(SKIP_4) | instid1(VALU_DEP_1)
	v_lshl_add_u64 v[18:19], v[2:3], 4, v[18:19]
	v_dual_mul_f64 v[16:17], s[18:19], v[16:17] :: v_dual_mov_b32 v4, v5
	global_load_b64 v[2:3], v[18:19], off
	v_fma_f64 v[14:15], s[16:17], v[14:15], -v[16:17]
	s_wait_loadcnt 0x0
	v_add_f64_e32 v[2:3], v[14:15], v[2:3]
	global_store_b128 v[18:19], v[2:5], off
	s_branch .LBB3_2
.LBB3_19:
	s_endpgm
	.section	.rodata,"a",@progbits
	.p2align	6, 0x0
	.amdhsa_kernel _ZL18rocblas_her_kernelILi1024EdPK19rocblas_complex_numIdEPS1_EvbiT0_T1_lllT2_llli
		.amdhsa_group_segment_fixed_size 0
		.amdhsa_private_segment_fixed_size 0
		.amdhsa_kernarg_size 84
		.amdhsa_user_sgpr_count 2
		.amdhsa_user_sgpr_dispatch_ptr 0
		.amdhsa_user_sgpr_queue_ptr 0
		.amdhsa_user_sgpr_kernarg_segment_ptr 1
		.amdhsa_user_sgpr_dispatch_id 0
		.amdhsa_user_sgpr_kernarg_preload_length 0
		.amdhsa_user_sgpr_kernarg_preload_offset 0
		.amdhsa_user_sgpr_private_segment_size 0
		.amdhsa_wavefront_size32 1
		.amdhsa_uses_dynamic_stack 0
		.amdhsa_enable_private_segment 0
		.amdhsa_system_sgpr_workgroup_id_x 1
		.amdhsa_system_sgpr_workgroup_id_y 0
		.amdhsa_system_sgpr_workgroup_id_z 1
		.amdhsa_system_sgpr_workgroup_info 0
		.amdhsa_system_vgpr_workitem_id 0
		.amdhsa_next_free_vgpr 34
		.amdhsa_next_free_sgpr 40
		.amdhsa_named_barrier_count 0
		.amdhsa_reserve_vcc 1
		.amdhsa_float_round_mode_32 0
		.amdhsa_float_round_mode_16_64 0
		.amdhsa_float_denorm_mode_32 3
		.amdhsa_float_denorm_mode_16_64 3
		.amdhsa_fp16_overflow 0
		.amdhsa_memory_ordered 1
		.amdhsa_forward_progress 1
		.amdhsa_inst_pref_size 8
		.amdhsa_round_robin_scheduling 0
		.amdhsa_exception_fp_ieee_invalid_op 0
		.amdhsa_exception_fp_denorm_src 0
		.amdhsa_exception_fp_ieee_div_zero 0
		.amdhsa_exception_fp_ieee_overflow 0
		.amdhsa_exception_fp_ieee_underflow 0
		.amdhsa_exception_fp_ieee_inexact 0
		.amdhsa_exception_int_div_zero 0
	.end_amdhsa_kernel
	.section	.text._ZL18rocblas_her_kernelILi1024EdPK19rocblas_complex_numIdEPS1_EvbiT0_T1_lllT2_llli,"axG",@progbits,_ZL18rocblas_her_kernelILi1024EdPK19rocblas_complex_numIdEPS1_EvbiT0_T1_lllT2_llli,comdat
.Lfunc_end3:
	.size	_ZL18rocblas_her_kernelILi1024EdPK19rocblas_complex_numIdEPS1_EvbiT0_T1_lllT2_llli, .Lfunc_end3-_ZL18rocblas_her_kernelILi1024EdPK19rocblas_complex_numIdEPS1_EvbiT0_T1_lllT2_llli
                                        ; -- End function
	.set _ZL18rocblas_her_kernelILi1024EdPK19rocblas_complex_numIdEPS1_EvbiT0_T1_lllT2_llli.num_vgpr, 34
	.set _ZL18rocblas_her_kernelILi1024EdPK19rocblas_complex_numIdEPS1_EvbiT0_T1_lllT2_llli.num_agpr, 0
	.set _ZL18rocblas_her_kernelILi1024EdPK19rocblas_complex_numIdEPS1_EvbiT0_T1_lllT2_llli.numbered_sgpr, 40
	.set _ZL18rocblas_her_kernelILi1024EdPK19rocblas_complex_numIdEPS1_EvbiT0_T1_lllT2_llli.num_named_barrier, 0
	.set _ZL18rocblas_her_kernelILi1024EdPK19rocblas_complex_numIdEPS1_EvbiT0_T1_lllT2_llli.private_seg_size, 0
	.set _ZL18rocblas_her_kernelILi1024EdPK19rocblas_complex_numIdEPS1_EvbiT0_T1_lllT2_llli.uses_vcc, 1
	.set _ZL18rocblas_her_kernelILi1024EdPK19rocblas_complex_numIdEPS1_EvbiT0_T1_lllT2_llli.uses_flat_scratch, 0
	.set _ZL18rocblas_her_kernelILi1024EdPK19rocblas_complex_numIdEPS1_EvbiT0_T1_lllT2_llli.has_dyn_sized_stack, 0
	.set _ZL18rocblas_her_kernelILi1024EdPK19rocblas_complex_numIdEPS1_EvbiT0_T1_lllT2_llli.has_recursion, 0
	.set _ZL18rocblas_her_kernelILi1024EdPK19rocblas_complex_numIdEPS1_EvbiT0_T1_lllT2_llli.has_indirect_call, 0
	.section	.AMDGPU.csdata,"",@progbits
; Kernel info:
; codeLenInByte = 1016
; TotalNumSgprs: 42
; NumVgprs: 34
; ScratchSize: 0
; MemoryBound: 0
; FloatMode: 240
; IeeeMode: 1
; LDSByteSize: 0 bytes/workgroup (compile time only)
; SGPRBlocks: 0
; VGPRBlocks: 2
; NumSGPRsForWavesPerEU: 42
; NumVGPRsForWavesPerEU: 34
; NamedBarCnt: 0
; Occupancy: 16
; WaveLimiterHint : 0
; COMPUTE_PGM_RSRC2:SCRATCH_EN: 0
; COMPUTE_PGM_RSRC2:USER_SGPR: 2
; COMPUTE_PGM_RSRC2:TRAP_HANDLER: 0
; COMPUTE_PGM_RSRC2:TGID_X_EN: 1
; COMPUTE_PGM_RSRC2:TGID_Y_EN: 0
; COMPUTE_PGM_RSRC2:TGID_Z_EN: 1
; COMPUTE_PGM_RSRC2:TIDIG_COMP_CNT: 0
	.section	.text._ZL18rocblas_her_kernelILi1024EPKfPKPK19rocblas_complex_numIfEPKPS3_EvbiT0_T1_lllT2_llli,"axG",@progbits,_ZL18rocblas_her_kernelILi1024EPKfPKPK19rocblas_complex_numIfEPKPS3_EvbiT0_T1_lllT2_llli,comdat
	.globl	_ZL18rocblas_her_kernelILi1024EPKfPKPK19rocblas_complex_numIfEPKPS3_EvbiT0_T1_lllT2_llli ; -- Begin function _ZL18rocblas_her_kernelILi1024EPKfPKPK19rocblas_complex_numIfEPKPS3_EvbiT0_T1_lllT2_llli
	.p2align	8
	.type	_ZL18rocblas_her_kernelILi1024EPKfPKPK19rocblas_complex_numIfEPKPS3_EvbiT0_T1_lllT2_llli,@function
_ZL18rocblas_her_kernelILi1024EPKfPKPK19rocblas_complex_numIfEPKPS3_EvbiT0_T1_lllT2_llli: ; @_ZL18rocblas_her_kernelILi1024EPKfPKPK19rocblas_complex_numIfEPKPS3_EvbiT0_T1_lllT2_llli
; %bb.0:
	s_load_b32 s33, s[0:1], 0x50
	s_bfe_u32 s2, ttmp6, 0x40014
	s_lshr_b32 s3, ttmp7, 16
	s_add_co_i32 s2, s2, 1
	s_bfe_u32 s5, ttmp6, 0x40008
	s_mul_i32 s4, s3, s2
	s_getreg_b32 s2, hwreg(HW_REG_IB_STS2, 6, 4)
	s_add_co_i32 s5, s5, s4
	s_cmp_eq_u32 s2, 0
	s_mov_b32 s7, 0
	s_cselect_b32 s38, s3, s5
	s_wait_kmcnt 0x0
	s_cmp_ge_u32 s38, s33
	s_cbranch_scc1 .LBB4_36
; %bb.1:
	s_clause 0x3
	s_load_b64 s[20:21], s[0:1], 0x0
	s_load_b256 s[8:15], s[0:1], 0x8
	s_load_b128 s[16:19], s[0:1], 0x30
	s_load_b64 s[4:5], s[0:1], 0x40
	v_dual_mov_b32 v3, 0 :: v_dual_mov_b32 v1, v0
	s_wait_kmcnt 0x0
	s_bitcmp1_b32 s20, 0
	v_cmp_gt_i32_e32 vcc_lo, s21, v0
	s_cselect_b32 s0, -1, 0
	s_bfe_u32 s1, ttmp6, 0x4000c
	s_and_b32 s3, ttmp6, 15
	s_add_co_i32 s1, s1, 1
	s_xor_b32 s20, s0, -1
	s_mul_i32 s1, ttmp9, s1
	v_cmp_eq_u32_e64 s0, 0, v0
	s_add_co_i32 s3, s3, s1
	s_cmp_eq_u32 s2, 0
	s_mov_b32 s24, s14
	s_cselect_b32 s22, ttmp9, s3
	s_delay_alu instid0(SALU_CYCLE_1)
	v_dual_cndmask_b32 v8, 0, v0, vcc_lo :: v_dual_add_nc_u32 v4, s22, v0
	s_add_co_i32 s30, s22, 1
	s_ashr_i32 s23, s22, 31
	s_lshl_b64 s[28:29], s[4:5], 3
	s_mul_u64 s[18:19], s[18:19], s[22:23]
	v_add_max_i32_e64 v5, 0x401, v4, s21
	s_lshl_b64 s[4:5], s[18:19], 3
	v_cmp_gt_i32_e64 s1, s22, v0
	s_add_nc_u64 s[36:37], s[4:5], s[28:29]
	s_mul_u64 s[34:35], s[14:15], s[22:23]
	v_sub_nc_u32_e32 v4, v5, v4
	v_xad_u32 v5, v0, -1, s22
	s_mov_b32 s25, s15
	s_mov_b32 s26, s14
	;; [unrolled: 1-line block ×3, first 2 shown]
	s_add_co_i32 s31, s22, 0x401
	v_dual_lshrrev_b32 v9, 10, v5 :: v_dual_add_nc_u32 v6, -2, v4
	v_lshlrev_b32_e32 v2, 3, v8
	v_add_nc_u32_e32 v4, s30, v0
	v_cmp_lt_u32_e64 s2, 0x3ff, v5
	s_delay_alu instid0(VALU_DEP_4)
	v_dual_add_nc_u32 v9, 1, v9 :: v_dual_lshrrev_b32 v7, 10, v6
	s_lshl_b64 s[12:13], s[12:13], 3
	v_cmp_gt_i32_e64 s3, s21, v4
	s_lshl_b64 s[34:35], s[34:35], 3
	v_and_b32_e32 v29, 0x7ffffe, v9
	v_add_nc_u32_e32 v10, 1, v7
	v_and_b32_e32 v5, 0xfffffc00, v6
	v_cmp_lt_u32_e32 vcc_lo, 0x1bff, v6
	v_lshlrev_b32_e32 v8, 3, v8
	v_cmp_ne_u32_e64 s4, v9, v29
	v_and_b32_e32 v28, 0x7ffffe, v10
	v_add_nc_u32_e32 v7, v4, v5
	v_add_nc_u32_e32 v5, 0x400, v4
	s_delay_alu instid0(VALU_DEP_2) | instskip(SKIP_4) | instid1(VALU_DEP_2)
	v_cmp_ge_i32_e64 s5, v7, v4
	v_add_nc_u64_e32 v[6:7], s[36:37], v[2:3]
	v_dual_lshlrev_b32 v2, 10, v28 :: v_dual_lshlrev_b32 v30, 10, v29
	s_and_b32 s39, vcc_lo, s5
	v_cmp_ne_u32_e64 s5, v10, v28
	v_dual_add_nc_u32 v31, v4, v2 :: v_dual_add_nc_u32 v32, s30, v2
	s_branch .LBB4_4
.LBB4_2:                                ;   in Loop: Header=BB4_4 Depth=1
	s_wait_xcnt 0x0
	s_or_b32 exec_lo, exec_lo, s6
.LBB4_3:                                ;   in Loop: Header=BB4_4 Depth=1
	s_add_co_i32 s38, s38, 0x10000
	s_delay_alu instid0(SALU_CYCLE_1)
	s_cmp_lt_u32 s38, s33
	s_cbranch_scc0 .LBB4_36
.LBB4_4:                                ; =>This Loop Header: Depth=1
                                        ;     Child Loop BB4_11 Depth 2
                                        ;     Child Loop BB4_19 Depth 2
	;; [unrolled: 1-line block ×4, first 2 shown]
	global_load_b32 v2, v3, s[8:9]
	s_wait_loadcnt 0x0
	v_cmp_eq_f32_e32 vcc_lo, 0, v2
	s_cbranch_vccnz .LBB4_3
; %bb.5:                                ;   in Loop: Header=BB4_4 Depth=1
	v_mov_b32_e32 v9, s38
	s_and_b32 vcc_lo, exec_lo, s20
	s_mov_b32 s6, -1
	s_clause 0x1
	global_load_b64 v[10:11], v9, s[10:11] scale_offset
	global_load_b64 v[20:21], v9, s[16:17] scale_offset
	s_wait_loadcnt 0x1
	v_add_nc_u64_e32 v[18:19], s[12:13], v[10:11]
	s_wait_loadcnt 0x0
	v_add_nc_u64_e32 v[12:13], s[28:29], v[20:21]
	s_delay_alu instid0(VALU_DEP_2) | instskip(SKIP_3) | instid1(VALU_DEP_1)
	v_add_nc_u64_e32 v[10:11], s[34:35], v[18:19]
	flat_load_b64 v[16:17], v[10:11]
	s_wait_xcnt 0x1
	v_mov_b32_e32 v9, v3
	v_add_nc_u64_e32 v[14:15], v[12:13], v[8:9]
	s_delay_alu instid0(VALU_DEP_1) | instskip(SKIP_2) | instid1(VALU_DEP_1)
	v_lshl_add_u64 v[14:15], s[18:19], 3, v[14:15]
	s_wait_loadcnt_dscnt 0x0
	v_dual_mul_f32 v12, 0, v17 :: v_dual_mul_f32 v9, v2, v17
	v_fmac_f32_e32 v12, v2, v16
	s_delay_alu instid0(VALU_DEP_2)
	v_fma_f32 v16, v16, 0, -v9
	s_cbranch_vccz .LBB4_21
; %bb.6:                                ;   in Loop: Header=BB4_4 Depth=1
	s_wait_xcnt 0x0
	s_and_saveexec_b32 s6, s0
	s_cbranch_execz .LBB4_8
; %bb.7:                                ;   in Loop: Header=BB4_4 Depth=1
	flat_load_b64 v[22:23], v[10:11]
	v_lshl_add_u64 v[24:25], s[22:23], 3, v[14:15]
	flat_load_b32 v2, v[24:25]
	s_wait_loadcnt_dscnt 0x101
	v_mul_f32_e32 v9, v16, v23
	s_delay_alu instid0(VALU_DEP_1) | instskip(SKIP_1) | instid1(VALU_DEP_1)
	v_fma_f32 v9, v12, v22, -v9
	s_wait_loadcnt_dscnt 0x0
	v_add_f32_e32 v2, v2, v9
	flat_store_b64 v[24:25], v[2:3]
.LBB4_8:                                ;   in Loop: Header=BB4_4 Depth=1
	s_wait_xcnt 0x0
	s_or_b32 exec_lo, exec_lo, s6
	s_and_saveexec_b32 s6, s3
	s_cbranch_execz .LBB4_20
; %bb.9:                                ;   in Loop: Header=BB4_4 Depth=1
	s_mov_b32 s36, 0
                                        ; implicit-def: $vgpr2
	s_and_saveexec_b32 s37, s39
	s_delay_alu instid0(SALU_CYCLE_1)
	s_xor_b32 s40, exec_lo, s37
	s_cbranch_execz .LBB4_15
; %bb.10:                               ;   in Loop: Header=BB4_4 Depth=1
	v_mov_b64_e32 v[22:23], v[4:5]
	v_dual_mov_b32 v13, v12 :: v_dual_mov_b32 v17, v16
	v_mov_b32_e32 v2, v28
	s_mov_b32 s41, 0
	s_mov_b64 s[36:37], s[30:31]
.LBB4_11:                               ;   Parent Loop BB4_4 Depth=1
                                        ; =>  This Inner Loop Header: Depth=2
	s_delay_alu instid0(VALU_DEP_3) | instskip(SKIP_4) | instid1(VALU_DEP_1)
	v_dual_ashrrev_i32 v25, 31, v22 :: v_dual_ashrrev_i32 v27, 31, v23
	v_dual_mov_b32 v26, v23 :: v_dual_mov_b32 v24, v22
	s_ashr_i32 s45, s36, 31
	s_mov_b32 s44, s36
	s_ashr_i32 s43, s37, 31
	v_mul_u64_e32 v[26:27], s[26:27], v[26:27]
	v_mul_u64_e32 v[24:25], s[24:25], v[24:25]
	s_mov_b32 s42, s37
	v_lshl_add_u64 v[34:35], s[44:45], 3, v[14:15]
	v_lshl_add_u64 v[36:37], s[42:43], 3, v[14:15]
	v_add_nc_u32_e32 v22, 0x800, v22
	s_addk_co_i32 s37, 0x800
	s_addk_co_i32 s36, 0x800
	v_lshl_add_u64 v[26:27], v[26:27], 3, v[18:19]
	v_lshl_add_u64 v[24:25], v[24:25], 3, v[18:19]
	s_clause 0x1
	flat_load_b64 v[38:39], v[26:27]
	flat_load_b64 v[40:41], v[24:25]
	s_clause 0x1
	flat_load_b64 v[42:43], v[34:35]
	flat_load_b64 v[44:45], v[36:37]
	s_wait_loadcnt_dscnt 0x202
	s_wait_xcnt 0x2
	v_dual_mov_b32 v25, v38 :: v_dual_mov_b32 v38, v41
	s_wait_loadcnt_dscnt 0x101
	v_dual_mov_b32 v26, v42 :: v_dual_mov_b32 v24, v40
	s_wait_loadcnt_dscnt 0x0
	v_dual_mov_b32 v27, v44 :: v_dual_mov_b32 v44, v43
	v_pk_mul_f32 v[40:41], v[16:17], v[38:39]
	v_pk_mul_f32 v[38:39], v[12:13], v[38:39]
	s_delay_alu instid0(VALU_DEP_2) | instskip(NEXT) | instid1(VALU_DEP_2)
	v_pk_fma_f32 v[40:41], v[12:13], v[24:25], v[40:41] neg_lo:[0,0,1] neg_hi:[0,0,1]
	v_pk_fma_f32 v[24:25], v[16:17], v[24:25], v[38:39]
	s_delay_alu instid0(VALU_DEP_2) | instskip(NEXT) | instid1(VALU_DEP_2)
	v_pk_add_f32 v[26:27], v[26:27], v[40:41]
	v_pk_add_f32 v[24:25], v[24:25], v[44:45]
	v_add_nc_u32_e32 v2, -2, v2
	s_delay_alu instid0(VALU_DEP_3) | instskip(NEXT) | instid1(VALU_DEP_3)
	v_dual_mov_b32 v38, v26 :: v_dual_add_nc_u32 v23, 0x800, v23
	v_mov_b32_e32 v39, v24
	s_delay_alu instid0(VALU_DEP_3)
	v_cmp_eq_u32_e32 vcc_lo, 0, v2
	v_mov_b32_e32 v24, v27
	s_clause 0x1
	flat_store_b64 v[34:35], v[38:39]
	flat_store_b64 v[36:37], v[24:25]
	s_or_b32 s41, vcc_lo, s41
	s_wait_xcnt 0x0
	s_and_not1_b32 exec_lo, exec_lo, s41
	s_cbranch_execnz .LBB4_11
; %bb.12:                               ;   in Loop: Header=BB4_4 Depth=1
	s_or_b32 exec_lo, exec_lo, s41
	s_mov_b32 s36, 0
                                        ; implicit-def: $vgpr2
	s_and_saveexec_b32 s37, s5
	s_delay_alu instid0(SALU_CYCLE_1)
	s_xor_b32 s37, exec_lo, s37
; %bb.13:                               ;   in Loop: Header=BB4_4 Depth=1
	v_add_nc_u32_e32 v2, v0, v32
	s_mov_b32 s36, exec_lo
; %bb.14:                               ;   in Loop: Header=BB4_4 Depth=1
	s_or_b32 exec_lo, exec_lo, s37
	s_delay_alu instid0(SALU_CYCLE_1)
	s_and_b32 s36, s36, exec_lo
.LBB4_15:                               ;   in Loop: Header=BB4_4 Depth=1
	s_or_saveexec_b32 s37, s40
	v_dual_mov_b32 v22, v32 :: v_dual_mov_b32 v24, v31
	s_xor_b32 exec_lo, exec_lo, s37
; %bb.16:                               ;   in Loop: Header=BB4_4 Depth=1
	v_dual_mov_b32 v22, s30 :: v_dual_mov_b32 v24, v4
	v_mov_b32_e32 v2, v4
	s_or_b32 s36, s36, exec_lo
; %bb.17:                               ;   in Loop: Header=BB4_4 Depth=1
	s_or_b32 exec_lo, exec_lo, s37
	s_delay_alu instid0(SALU_CYCLE_1)
	s_and_b32 exec_lo, exec_lo, s36
	s_cbranch_execz .LBB4_20
; %bb.18:                               ;   in Loop: Header=BB4_4 Depth=1
	v_add_nc_u64_e32 v[26:27], v[20:21], v[6:7]
	v_dual_ashrrev_i32 v23, 31, v22 :: v_dual_mov_b32 v17, v16
	v_mov_b32_e32 v13, v12
	s_mov_b32 s36, 0
	s_delay_alu instid0(VALU_DEP_2)
	v_lshl_add_u64 v[26:27], v[22:23], 3, v[26:27]
.LBB4_19:                               ;   Parent Loop BB4_4 Depth=1
                                        ; =>  This Inner Loop Header: Depth=2
	s_delay_alu instid0(VALU_DEP_1) | instskip(SKIP_2) | instid1(VALU_DEP_3)
	v_ashrrev_i32_e32 v25, 31, v24
	v_add_nc_u32_e32 v22, 0x400, v22
	v_add_nc_u32_e32 v2, 0x400, v2
	v_mul_u64_e32 v[24:25], s[14:15], v[24:25]
	s_delay_alu instid0(VALU_DEP_2) | instskip(SKIP_1) | instid1(VALU_DEP_2)
	v_cmp_le_i32_e32 vcc_lo, s21, v2
	s_or_b32 s36, vcc_lo, s36
	v_lshl_add_u64 v[24:25], v[24:25], 3, v[18:19]
	flat_load_b64 v[34:35], v[24:25]
	flat_load_b64 v[36:37], v[26:27]
	s_wait_loadcnt_dscnt 0x101
	s_wait_xcnt 0x1
	v_pk_mul_f32 v[24:25], v[16:17], v[34:35] op_sel:[0,1] op_sel_hi:[1,0]
	s_delay_alu instid0(VALU_DEP_1) | instskip(SKIP_1) | instid1(VALU_DEP_2)
	v_pk_fma_f32 v[38:39], v[12:13], v[34:35], v[24:25]
	v_pk_fma_f32 v[24:25], v[12:13], v[34:35], v[24:25] neg_lo:[0,0,1] neg_hi:[0,0,1]
	v_mov_b32_e32 v25, v39
	s_wait_loadcnt_dscnt 0x0
	s_delay_alu instid0(VALU_DEP_1)
	v_pk_add_f32 v[24:25], v[36:37], v[24:25]
	flat_store_b64 v[26:27], v[24:25]
	s_wait_xcnt 0x0
	v_add_nc_u64_e32 v[26:27], 0x2000, v[26:27]
	v_add_nc_u32_e32 v24, v22, v0
	s_and_not1_b32 exec_lo, exec_lo, s36
	s_cbranch_execnz .LBB4_19
.LBB4_20:                               ;   in Loop: Header=BB4_4 Depth=1
	s_or_b32 exec_lo, exec_lo, s6
	s_mov_b32 s6, 0
.LBB4_21:                               ;   in Loop: Header=BB4_4 Depth=1
	s_delay_alu instid0(SALU_CYCLE_1)
	s_and_b32 vcc_lo, exec_lo, s6
	s_cbranch_vccz .LBB4_3
; %bb.22:                               ;   in Loop: Header=BB4_4 Depth=1
	v_mov_b64_e32 v[22:23], 0
	v_mov_b32_e32 v9, v0
	s_wait_xcnt 0x0
	s_and_saveexec_b32 s40, s1
	s_cbranch_execz .LBB4_34
; %bb.23:                               ;   in Loop: Header=BB4_4 Depth=1
	s_mov_b32 s36, 0
                                        ; implicit-def: $vgpr9
	s_and_saveexec_b32 s6, s2
	s_delay_alu instid0(SALU_CYCLE_1)
	s_xor_b32 s41, exec_lo, s6
	s_cbranch_execnz .LBB4_26
; %bb.24:                               ;   in Loop: Header=BB4_4 Depth=1
	s_or_saveexec_b32 s6, s41
	v_mov_b32_e32 v22, v30
	s_xor_b32 exec_lo, exec_lo, s6
	s_cbranch_execnz .LBB4_29
.LBB4_25:                               ;   in Loop: Header=BB4_4 Depth=1
	s_or_b32 exec_lo, exec_lo, s6
	v_mov_b32_e32 v2, v30
	s_and_saveexec_b32 s6, s36
	s_cbranch_execnz .LBB4_30
	s_branch .LBB4_33
.LBB4_26:                               ;   in Loop: Header=BB4_4 Depth=1
	v_dual_mov_b32 v13, v12 :: v_dual_mov_b32 v17, v16
	v_mov_b32_e32 v9, v29
	s_mov_b32 s42, 0
	s_movk_i32 s36, 0x400
	s_mov_b32 s6, s42
.LBB4_27:                               ;   Parent Loop BB4_4 Depth=1
                                        ; =>  This Inner Loop Header: Depth=2
	v_dual_mov_b32 v23, v3 :: v_dual_bitop2_b32 v22, s36, v1 bitop3:0x54
	v_or_b32_e32 v2, s6, v0
	s_mov_b32 s37, s7
	v_lshl_add_u64 v[26:27], s[6:7], 3, v[14:15]
	v_lshl_add_u64 v[34:35], s[36:37], 3, v[14:15]
	v_mul_u64_e32 v[22:23], s[26:27], v[22:23]
	v_mul_u64_e32 v[24:25], s[24:25], v[2:3]
	s_add_co_i32 s37, s36, 0x800
	s_addk_co_i32 s6, 0x800
	v_dual_mov_b32 v2, s36 :: v_dual_add_nc_u32 v9, -2, v9
	s_mov_b32 s36, s37
	s_delay_alu instid0(VALU_DEP_1) | instskip(SKIP_1) | instid1(VALU_DEP_4)
	v_cmp_eq_u32_e32 vcc_lo, 0, v9
	s_or_b32 s42, vcc_lo, s42
	v_lshl_add_u64 v[22:23], v[22:23], 3, v[18:19]
	s_delay_alu instid0(VALU_DEP_4)
	v_lshl_add_u64 v[24:25], v[24:25], 3, v[18:19]
	s_clause 0x1
	flat_load_b64 v[36:37], v[22:23]
	flat_load_b64 v[38:39], v[24:25]
	s_clause 0x1
	flat_load_b64 v[40:41], v[26:27]
	flat_load_b64 v[42:43], v[34:35]
	s_wait_loadcnt_dscnt 0x202
	s_wait_xcnt 0x3
	v_dual_mov_b32 v23, v36 :: v_dual_mov_b32 v36, v39
	s_wait_loadcnt_dscnt 0x101
	s_wait_xcnt 0x2
	v_dual_mov_b32 v24, v40 :: v_dual_mov_b32 v22, v38
	s_wait_loadcnt_dscnt 0x0
	v_dual_mov_b32 v25, v42 :: v_dual_mov_b32 v42, v41
	v_pk_mul_f32 v[38:39], v[16:17], v[36:37]
	v_pk_mul_f32 v[36:37], v[12:13], v[36:37]
	s_delay_alu instid0(VALU_DEP_2) | instskip(NEXT) | instid1(VALU_DEP_2)
	v_pk_fma_f32 v[38:39], v[12:13], v[22:23], v[38:39] neg_lo:[0,0,1] neg_hi:[0,0,1]
	v_pk_fma_f32 v[22:23], v[16:17], v[22:23], v[36:37]
	s_delay_alu instid0(VALU_DEP_2) | instskip(NEXT) | instid1(VALU_DEP_2)
	v_pk_add_f32 v[24:25], v[24:25], v[38:39]
	v_pk_add_f32 v[22:23], v[22:23], v[42:43]
	s_delay_alu instid0(VALU_DEP_1) | instskip(NEXT) | instid1(VALU_DEP_3)
	v_dual_mov_b32 v36, v24 :: v_dual_mov_b32 v37, v22
	v_mov_b32_e32 v22, v25
	s_clause 0x1
	flat_store_b64 v[26:27], v[36:37]
	flat_store_b64 v[34:35], v[22:23]
	s_wait_xcnt 0x0
	s_and_not1_b32 exec_lo, exec_lo, s42
	s_cbranch_execnz .LBB4_27
; %bb.28:                               ;   in Loop: Header=BB4_4 Depth=1
	s_or_b32 exec_lo, exec_lo, s42
	v_add3_u32 v9, v2, v0, 0x400
	s_and_b32 s36, s4, exec_lo
	s_or_saveexec_b32 s6, s41
	v_mov_b32_e32 v22, v30
	s_xor_b32 exec_lo, exec_lo, s6
	s_cbranch_execz .LBB4_25
.LBB4_29:                               ;   in Loop: Header=BB4_4 Depth=1
	v_mov_b32_e32 v22, 0
	s_or_b32 s36, s36, exec_lo
	s_or_b32 exec_lo, exec_lo, s6
	v_mov_b32_e32 v2, v30
	s_and_saveexec_b32 s6, s36
	s_cbranch_execz .LBB4_33
.LBB4_30:                               ;   in Loop: Header=BB4_4 Depth=1
	v_add_nc_u64_e32 v[20:21], v[20:21], v[6:7]
	v_dual_mov_b32 v23, v3 :: v_dual_mov_b32 v17, v16
	v_mov_b32_e32 v13, v12
	s_mov_b32 s36, 0
	s_delay_alu instid0(VALU_DEP_2)
	v_lshl_add_u64 v[20:21], v[22:23], 3, v[20:21]
.LBB4_31:                               ;   Parent Loop BB4_4 Depth=1
                                        ; =>  This Inner Loop Header: Depth=2
	v_add_nc_u32_e32 v2, v0, v22
	v_add_nc_u32_e32 v22, 0x400, v22
	s_delay_alu instid0(VALU_DEP_2) | instskip(NEXT) | instid1(VALU_DEP_2)
	v_mul_u64_e32 v[24:25], s[14:15], v[2:3]
	v_add_nc_u32_e32 v9, v0, v22
	s_delay_alu instid0(VALU_DEP_1) | instskip(SKIP_1) | instid1(VALU_DEP_3)
	v_cmp_le_i32_e32 vcc_lo, s22, v9
	s_or_b32 s36, vcc_lo, s36
	v_lshl_add_u64 v[24:25], v[24:25], 3, v[18:19]
	flat_load_b64 v[26:27], v[24:25]
	flat_load_b64 v[34:35], v[20:21]
	s_wait_loadcnt_dscnt 0x101
	s_wait_xcnt 0x1
	v_pk_mul_f32 v[24:25], v[16:17], v[26:27] op_sel:[0,1] op_sel_hi:[1,0]
	s_delay_alu instid0(VALU_DEP_1) | instskip(SKIP_1) | instid1(VALU_DEP_2)
	v_pk_fma_f32 v[36:37], v[12:13], v[26:27], v[24:25]
	v_pk_fma_f32 v[24:25], v[12:13], v[26:27], v[24:25] neg_lo:[0,0,1] neg_hi:[0,0,1]
	v_mov_b32_e32 v25, v37
	s_wait_loadcnt_dscnt 0x0
	s_delay_alu instid0(VALU_DEP_1)
	v_pk_add_f32 v[24:25], v[34:35], v[24:25]
	flat_store_b64 v[20:21], v[24:25]
	s_wait_xcnt 0x0
	v_add_nc_u64_e32 v[20:21], 0x2000, v[20:21]
	s_and_not1_b32 exec_lo, exec_lo, s36
	s_cbranch_execnz .LBB4_31
; %bb.32:                               ;   in Loop: Header=BB4_4 Depth=1
	s_or_b32 exec_lo, exec_lo, s36
	v_mov_b32_e32 v2, v22
.LBB4_33:                               ;   in Loop: Header=BB4_4 Depth=1
	s_or_b32 exec_lo, exec_lo, s6
	s_delay_alu instid0(VALU_DEP_1)
	v_mov_b64_e32 v[22:23], v[2:3]
.LBB4_34:                               ;   in Loop: Header=BB4_4 Depth=1
	s_or_b32 exec_lo, exec_lo, s40
	s_delay_alu instid0(SALU_CYCLE_1)
	s_mov_b32 s6, exec_lo
	v_cmpx_eq_u32_e64 s22, v9
	s_cbranch_execz .LBB4_2
; %bb.35:                               ;   in Loop: Header=BB4_4 Depth=1
	flat_load_b64 v[10:11], v[10:11]
	v_lshl_add_u64 v[14:15], v[22:23], 3, v[14:15]
	flat_load_b32 v2, v[14:15]
	s_wait_loadcnt_dscnt 0x101
	v_mul_f32_e32 v9, v16, v11
	s_delay_alu instid0(VALU_DEP_1) | instskip(SKIP_1) | instid1(VALU_DEP_1)
	v_fma_f32 v9, v12, v10, -v9
	s_wait_loadcnt_dscnt 0x0
	v_add_f32_e32 v2, v2, v9
	flat_store_b64 v[14:15], v[2:3]
	s_branch .LBB4_2
.LBB4_36:
	s_endpgm
	.section	.rodata,"a",@progbits
	.p2align	6, 0x0
	.amdhsa_kernel _ZL18rocblas_her_kernelILi1024EPKfPKPK19rocblas_complex_numIfEPKPS3_EvbiT0_T1_lllT2_llli
		.amdhsa_group_segment_fixed_size 0
		.amdhsa_private_segment_fixed_size 0
		.amdhsa_kernarg_size 84
		.amdhsa_user_sgpr_count 2
		.amdhsa_user_sgpr_dispatch_ptr 0
		.amdhsa_user_sgpr_queue_ptr 0
		.amdhsa_user_sgpr_kernarg_segment_ptr 1
		.amdhsa_user_sgpr_dispatch_id 0
		.amdhsa_user_sgpr_kernarg_preload_length 0
		.amdhsa_user_sgpr_kernarg_preload_offset 0
		.amdhsa_user_sgpr_private_segment_size 0
		.amdhsa_wavefront_size32 1
		.amdhsa_uses_dynamic_stack 0
		.amdhsa_enable_private_segment 0
		.amdhsa_system_sgpr_workgroup_id_x 1
		.amdhsa_system_sgpr_workgroup_id_y 0
		.amdhsa_system_sgpr_workgroup_id_z 1
		.amdhsa_system_sgpr_workgroup_info 0
		.amdhsa_system_vgpr_workitem_id 0
		.amdhsa_next_free_vgpr 46
		.amdhsa_next_free_sgpr 46
		.amdhsa_named_barrier_count 0
		.amdhsa_reserve_vcc 1
		.amdhsa_float_round_mode_32 0
		.amdhsa_float_round_mode_16_64 0
		.amdhsa_float_denorm_mode_32 3
		.amdhsa_float_denorm_mode_16_64 3
		.amdhsa_fp16_overflow 0
		.amdhsa_memory_ordered 1
		.amdhsa_forward_progress 1
		.amdhsa_inst_pref_size 18
		.amdhsa_round_robin_scheduling 0
		.amdhsa_exception_fp_ieee_invalid_op 0
		.amdhsa_exception_fp_denorm_src 0
		.amdhsa_exception_fp_ieee_div_zero 0
		.amdhsa_exception_fp_ieee_overflow 0
		.amdhsa_exception_fp_ieee_underflow 0
		.amdhsa_exception_fp_ieee_inexact 0
		.amdhsa_exception_int_div_zero 0
	.end_amdhsa_kernel
	.section	.text._ZL18rocblas_her_kernelILi1024EPKfPKPK19rocblas_complex_numIfEPKPS3_EvbiT0_T1_lllT2_llli,"axG",@progbits,_ZL18rocblas_her_kernelILi1024EPKfPKPK19rocblas_complex_numIfEPKPS3_EvbiT0_T1_lllT2_llli,comdat
.Lfunc_end4:
	.size	_ZL18rocblas_her_kernelILi1024EPKfPKPK19rocblas_complex_numIfEPKPS3_EvbiT0_T1_lllT2_llli, .Lfunc_end4-_ZL18rocblas_her_kernelILi1024EPKfPKPK19rocblas_complex_numIfEPKPS3_EvbiT0_T1_lllT2_llli
                                        ; -- End function
	.set _ZL18rocblas_her_kernelILi1024EPKfPKPK19rocblas_complex_numIfEPKPS3_EvbiT0_T1_lllT2_llli.num_vgpr, 46
	.set _ZL18rocblas_her_kernelILi1024EPKfPKPK19rocblas_complex_numIfEPKPS3_EvbiT0_T1_lllT2_llli.num_agpr, 0
	.set _ZL18rocblas_her_kernelILi1024EPKfPKPK19rocblas_complex_numIfEPKPS3_EvbiT0_T1_lllT2_llli.numbered_sgpr, 46
	.set _ZL18rocblas_her_kernelILi1024EPKfPKPK19rocblas_complex_numIfEPKPS3_EvbiT0_T1_lllT2_llli.num_named_barrier, 0
	.set _ZL18rocblas_her_kernelILi1024EPKfPKPK19rocblas_complex_numIfEPKPS3_EvbiT0_T1_lllT2_llli.private_seg_size, 0
	.set _ZL18rocblas_her_kernelILi1024EPKfPKPK19rocblas_complex_numIfEPKPS3_EvbiT0_T1_lllT2_llli.uses_vcc, 1
	.set _ZL18rocblas_her_kernelILi1024EPKfPKPK19rocblas_complex_numIfEPKPS3_EvbiT0_T1_lllT2_llli.uses_flat_scratch, 1
	.set _ZL18rocblas_her_kernelILi1024EPKfPKPK19rocblas_complex_numIfEPKPS3_EvbiT0_T1_lllT2_llli.has_dyn_sized_stack, 0
	.set _ZL18rocblas_her_kernelILi1024EPKfPKPK19rocblas_complex_numIfEPKPS3_EvbiT0_T1_lllT2_llli.has_recursion, 0
	.set _ZL18rocblas_her_kernelILi1024EPKfPKPK19rocblas_complex_numIfEPKPS3_EvbiT0_T1_lllT2_llli.has_indirect_call, 0
	.section	.AMDGPU.csdata,"",@progbits
; Kernel info:
; codeLenInByte = 2236
; TotalNumSgprs: 48
; NumVgprs: 46
; ScratchSize: 0
; MemoryBound: 0
; FloatMode: 240
; IeeeMode: 1
; LDSByteSize: 0 bytes/workgroup (compile time only)
; SGPRBlocks: 0
; VGPRBlocks: 2
; NumSGPRsForWavesPerEU: 48
; NumVGPRsForWavesPerEU: 46
; NamedBarCnt: 0
; Occupancy: 16
; WaveLimiterHint : 1
; COMPUTE_PGM_RSRC2:SCRATCH_EN: 0
; COMPUTE_PGM_RSRC2:USER_SGPR: 2
; COMPUTE_PGM_RSRC2:TRAP_HANDLER: 0
; COMPUTE_PGM_RSRC2:TGID_X_EN: 1
; COMPUTE_PGM_RSRC2:TGID_Y_EN: 0
; COMPUTE_PGM_RSRC2:TGID_Z_EN: 1
; COMPUTE_PGM_RSRC2:TIDIG_COMP_CNT: 0
	.section	.text._ZL18rocblas_her_kernelILi1024EfPKPK19rocblas_complex_numIfEPKPS1_EvbiT0_T1_lllT2_llli,"axG",@progbits,_ZL18rocblas_her_kernelILi1024EfPKPK19rocblas_complex_numIfEPKPS1_EvbiT0_T1_lllT2_llli,comdat
	.globl	_ZL18rocblas_her_kernelILi1024EfPKPK19rocblas_complex_numIfEPKPS1_EvbiT0_T1_lllT2_llli ; -- Begin function _ZL18rocblas_her_kernelILi1024EfPKPK19rocblas_complex_numIfEPKPS1_EvbiT0_T1_lllT2_llli
	.p2align	8
	.type	_ZL18rocblas_her_kernelILi1024EfPKPK19rocblas_complex_numIfEPKPS1_EvbiT0_T1_lllT2_llli,@function
_ZL18rocblas_her_kernelILi1024EfPKPK19rocblas_complex_numIfEPKPS1_EvbiT0_T1_lllT2_llli: ; @_ZL18rocblas_her_kernelILi1024EfPKPK19rocblas_complex_numIfEPKPS1_EvbiT0_T1_lllT2_llli
; %bb.0:
	s_load_b32 s19, s[0:1], 0x50
	s_bfe_u32 s2, ttmp6, 0x40014
	s_lshr_b32 s3, ttmp7, 16
	s_add_co_i32 s2, s2, 1
	s_bfe_u32 s5, ttmp6, 0x40008
	s_mul_i32 s4, s3, s2
	s_getreg_b32 s2, hwreg(HW_REG_IB_STS2, 6, 4)
	s_add_co_i32 s5, s5, s4
	s_cmp_eq_u32 s2, 0
	s_mov_b32 s7, 0
	s_cselect_b32 s33, s3, s5
	s_wait_kmcnt 0x0
	s_cmp_ge_u32 s33, s19
	s_cbranch_scc1 .LBB5_36
; %bb.1:
	s_clause 0x4
	s_load_b96 s[16:18], s[0:1], 0x0
	s_load_b128 s[8:11], s[0:1], 0x10
	s_load_b64 s[20:21], s[0:1], 0x20
	s_load_b128 s[12:15], s[0:1], 0x30
	s_load_b64 s[4:5], s[0:1], 0x40
	s_wait_xcnt 0x0
	v_cmp_eq_u32_e64 s0, 0, v0
	v_mov_b32_e32 v1, v0
	s_wait_kmcnt 0x0
	s_bitcmp1_b32 s16, 0
	v_cmp_gt_i32_e32 vcc_lo, s17, v0
	s_cselect_b32 s3, -1, 0
	s_mov_b32 s24, s20
	s_xor_b32 s16, s3, -1
	s_cmp_neq_f32 s18, 0
	v_cndmask_b32_e32 v8, 0, v0, vcc_lo
	s_mov_b32 s25, s21
	s_cselect_b32 s36, -1, 0
	s_bfe_u32 s3, ttmp6, 0x4000c
	s_and_b32 s6, ttmp6, 15
	s_add_co_i32 s3, s3, 1
	s_delay_alu instid0(SALU_CYCLE_1) | instskip(NEXT) | instid1(SALU_CYCLE_1)
	s_mul_i32 s3, ttmp9, s3
	s_add_co_i32 s6, s6, s3
	s_cmp_eq_u32 s2, 0
	s_cselect_b32 s22, ttmp9, s6
	s_delay_alu instid0(SALU_CYCLE_1)
	v_dual_mov_b32 v3, 0 :: v_dual_add_nc_u32 v4, s22, v0
	s_add_co_i32 s28, s22, 1
	s_ashr_i32 s23, s22, 31
	s_lshl_b64 s[26:27], s[4:5], 3
	s_mul_u64 s[14:15], s[14:15], s[22:23]
	v_add_max_i32_e64 v5, 0x401, v4, s17
	s_lshl_b64 s[4:5], s[14:15], 3
	v_cmp_gt_i32_e64 s1, s22, v0
	s_add_nc_u64 s[34:35], s[4:5], s[26:27]
	s_mul_u64 s[30:31], s[20:21], s[22:23]
	v_sub_nc_u32_e32 v4, v5, v4
	v_xad_u32 v5, v0, -1, s22
	s_add_co_i32 s29, s22, 0x401
	s_lshl_b64 s[10:11], s[10:11], 3
	s_lshl_b64 s[30:31], s[30:31], 3
	s_delay_alu instid0(VALU_DEP_1) | instskip(SKIP_3) | instid1(VALU_DEP_4)
	v_dual_lshrrev_b32 v9, 10, v5 :: v_dual_add_nc_u32 v6, -2, v4
	v_lshlrev_b32_e32 v2, 3, v8
	v_add_nc_u32_e32 v4, s28, v0
	v_cmp_lt_u32_e64 s2, 0x3ff, v5
	v_dual_add_nc_u32 v9, 1, v9 :: v_dual_lshrrev_b32 v7, 10, v6
	v_lshlrev_b32_e32 v8, 3, v8
	s_delay_alu instid0(VALU_DEP_4) | instskip(NEXT) | instid1(VALU_DEP_3)
	v_cmp_gt_i32_e64 s3, s17, v4
	v_and_b32_e32 v29, 0x7ffffe, v9
	s_delay_alu instid0(VALU_DEP_4) | instskip(SKIP_2) | instid1(VALU_DEP_4)
	v_add_nc_u32_e32 v10, 1, v7
	v_and_b32_e32 v5, 0xfffffc00, v6
	v_cmp_lt_u32_e32 vcc_lo, 0x1bff, v6
	v_cmp_ne_u32_e64 s4, v9, v29
	s_delay_alu instid0(VALU_DEP_4) | instskip(NEXT) | instid1(VALU_DEP_4)
	v_and_b32_e32 v28, 0x7ffffe, v10
	v_add_nc_u32_e32 v7, v4, v5
	v_add_nc_u32_e32 v5, 0x400, v4
	s_delay_alu instid0(VALU_DEP_2) | instskip(SKIP_4) | instid1(VALU_DEP_2)
	v_cmp_ge_i32_e64 s5, v7, v4
	v_add_nc_u64_e32 v[6:7], s[34:35], v[2:3]
	v_dual_lshlrev_b32 v2, 10, v28 :: v_dual_lshlrev_b32 v30, 10, v29
	s_and_b32 s37, vcc_lo, s5
	v_cmp_ne_u32_e64 s5, v10, v28
	v_dual_add_nc_u32 v31, v4, v2 :: v_dual_add_nc_u32 v32, s28, v2
	s_branch .LBB5_4
.LBB5_2:                                ;   in Loop: Header=BB5_4 Depth=1
	s_wait_xcnt 0x0
	s_or_b32 exec_lo, exec_lo, s6
.LBB5_3:                                ;   in Loop: Header=BB5_4 Depth=1
	s_add_co_i32 s33, s33, 0x10000
	s_delay_alu instid0(SALU_CYCLE_1)
	s_cmp_lt_u32 s33, s19
	s_cbranch_scc0 .LBB5_36
.LBB5_4:                                ; =>This Loop Header: Depth=1
                                        ;     Child Loop BB5_11 Depth 2
                                        ;     Child Loop BB5_19 Depth 2
	;; [unrolled: 1-line block ×4, first 2 shown]
	s_and_not1_b32 vcc_lo, exec_lo, s36
	s_cbranch_vccnz .LBB5_3
; %bb.5:                                ;   in Loop: Header=BB5_4 Depth=1
	v_dual_mov_b32 v2, s33 :: v_dual_mov_b32 v9, v3
	s_and_b32 vcc_lo, exec_lo, s16
	s_mov_b32 s6, -1
	s_clause 0x1
	global_load_b64 v[10:11], v2, s[8:9] scale_offset
	global_load_b64 v[20:21], v2, s[12:13] scale_offset
	s_wait_loadcnt 0x1
	v_add_nc_u64_e32 v[18:19], s[10:11], v[10:11]
	s_wait_loadcnt 0x0
	v_add_nc_u64_e32 v[12:13], s[26:27], v[20:21]
	s_delay_alu instid0(VALU_DEP_2) | instskip(NEXT) | instid1(VALU_DEP_2)
	v_add_nc_u64_e32 v[10:11], s[30:31], v[18:19]
	v_add_nc_u64_e32 v[14:15], v[12:13], v[8:9]
	flat_load_b64 v[16:17], v[10:11]
	v_lshl_add_u64 v[14:15], s[14:15], 3, v[14:15]
	s_wait_loadcnt_dscnt 0x0
	s_wait_xcnt 0x1
	v_dual_mul_f32 v12, 0, v17 :: v_dual_mul_f32 v2, s18, v17
	s_delay_alu instid0(VALU_DEP_1) | instskip(NEXT) | instid1(VALU_DEP_2)
	v_fmac_f32_e32 v12, s18, v16
	v_fma_f32 v16, v16, 0, -v2
	s_cbranch_vccz .LBB5_21
; %bb.6:                                ;   in Loop: Header=BB5_4 Depth=1
	s_wait_xcnt 0x0
	s_and_saveexec_b32 s6, s0
	s_cbranch_execz .LBB5_8
; %bb.7:                                ;   in Loop: Header=BB5_4 Depth=1
	flat_load_b64 v[22:23], v[10:11]
	v_lshl_add_u64 v[24:25], s[22:23], 3, v[14:15]
	flat_load_b32 v2, v[24:25]
	s_wait_loadcnt_dscnt 0x101
	v_mul_f32_e32 v9, v16, v23
	s_delay_alu instid0(VALU_DEP_1) | instskip(SKIP_1) | instid1(VALU_DEP_1)
	v_fma_f32 v9, v12, v22, -v9
	s_wait_loadcnt_dscnt 0x0
	v_add_f32_e32 v2, v2, v9
	flat_store_b64 v[24:25], v[2:3]
.LBB5_8:                                ;   in Loop: Header=BB5_4 Depth=1
	s_wait_xcnt 0x0
	s_or_b32 exec_lo, exec_lo, s6
	s_and_saveexec_b32 s6, s3
	s_cbranch_execz .LBB5_20
; %bb.9:                                ;   in Loop: Header=BB5_4 Depth=1
	s_mov_b32 s34, 0
                                        ; implicit-def: $vgpr2
	s_and_saveexec_b32 s35, s37
	s_delay_alu instid0(SALU_CYCLE_1)
	s_xor_b32 s38, exec_lo, s35
	s_cbranch_execz .LBB5_15
; %bb.10:                               ;   in Loop: Header=BB5_4 Depth=1
	v_mov_b64_e32 v[22:23], v[4:5]
	v_dual_mov_b32 v13, v12 :: v_dual_mov_b32 v17, v16
	v_mov_b32_e32 v2, v28
	s_mov_b32 s39, 0
	s_mov_b64 s[34:35], s[28:29]
.LBB5_11:                               ;   Parent Loop BB5_4 Depth=1
                                        ; =>  This Inner Loop Header: Depth=2
	s_delay_alu instid0(VALU_DEP_3) | instskip(SKIP_4) | instid1(VALU_DEP_1)
	v_dual_ashrrev_i32 v25, 31, v22 :: v_dual_ashrrev_i32 v27, 31, v23
	v_dual_mov_b32 v26, v23 :: v_dual_mov_b32 v24, v22
	s_ashr_i32 s43, s34, 31
	s_mov_b32 s42, s34
	s_ashr_i32 s41, s35, 31
	v_mul_u64_e32 v[26:27], s[24:25], v[26:27]
	v_mul_u64_e32 v[24:25], s[20:21], v[24:25]
	s_mov_b32 s40, s35
	v_lshl_add_u64 v[34:35], s[42:43], 3, v[14:15]
	v_lshl_add_u64 v[36:37], s[40:41], 3, v[14:15]
	v_add_nc_u32_e32 v22, 0x800, v22
	s_addk_co_i32 s35, 0x800
	s_addk_co_i32 s34, 0x800
	v_lshl_add_u64 v[26:27], v[26:27], 3, v[18:19]
	v_lshl_add_u64 v[24:25], v[24:25], 3, v[18:19]
	s_clause 0x1
	flat_load_b64 v[38:39], v[26:27]
	flat_load_b64 v[40:41], v[24:25]
	s_clause 0x1
	flat_load_b64 v[42:43], v[34:35]
	flat_load_b64 v[44:45], v[36:37]
	s_wait_loadcnt_dscnt 0x202
	s_wait_xcnt 0x2
	v_dual_mov_b32 v25, v38 :: v_dual_mov_b32 v38, v41
	s_wait_loadcnt_dscnt 0x101
	v_dual_mov_b32 v26, v42 :: v_dual_mov_b32 v24, v40
	s_wait_loadcnt_dscnt 0x0
	v_dual_mov_b32 v27, v44 :: v_dual_mov_b32 v44, v43
	v_pk_mul_f32 v[40:41], v[16:17], v[38:39]
	v_pk_mul_f32 v[38:39], v[12:13], v[38:39]
	s_delay_alu instid0(VALU_DEP_2) | instskip(NEXT) | instid1(VALU_DEP_2)
	v_pk_fma_f32 v[40:41], v[12:13], v[24:25], v[40:41] neg_lo:[0,0,1] neg_hi:[0,0,1]
	v_pk_fma_f32 v[24:25], v[16:17], v[24:25], v[38:39]
	s_delay_alu instid0(VALU_DEP_2) | instskip(NEXT) | instid1(VALU_DEP_2)
	v_pk_add_f32 v[26:27], v[26:27], v[40:41]
	v_pk_add_f32 v[24:25], v[24:25], v[44:45]
	v_add_nc_u32_e32 v2, -2, v2
	s_delay_alu instid0(VALU_DEP_3) | instskip(NEXT) | instid1(VALU_DEP_3)
	v_dual_mov_b32 v38, v26 :: v_dual_add_nc_u32 v23, 0x800, v23
	v_mov_b32_e32 v39, v24
	s_delay_alu instid0(VALU_DEP_3)
	v_cmp_eq_u32_e32 vcc_lo, 0, v2
	v_mov_b32_e32 v24, v27
	s_clause 0x1
	flat_store_b64 v[34:35], v[38:39]
	flat_store_b64 v[36:37], v[24:25]
	s_or_b32 s39, vcc_lo, s39
	s_wait_xcnt 0x0
	s_and_not1_b32 exec_lo, exec_lo, s39
	s_cbranch_execnz .LBB5_11
; %bb.12:                               ;   in Loop: Header=BB5_4 Depth=1
	s_or_b32 exec_lo, exec_lo, s39
	s_mov_b32 s34, 0
                                        ; implicit-def: $vgpr2
	s_and_saveexec_b32 s35, s5
	s_delay_alu instid0(SALU_CYCLE_1)
	s_xor_b32 s35, exec_lo, s35
; %bb.13:                               ;   in Loop: Header=BB5_4 Depth=1
	v_add_nc_u32_e32 v2, v0, v32
	s_mov_b32 s34, exec_lo
; %bb.14:                               ;   in Loop: Header=BB5_4 Depth=1
	s_or_b32 exec_lo, exec_lo, s35
	s_delay_alu instid0(SALU_CYCLE_1)
	s_and_b32 s34, s34, exec_lo
.LBB5_15:                               ;   in Loop: Header=BB5_4 Depth=1
	s_or_saveexec_b32 s35, s38
	v_dual_mov_b32 v22, v32 :: v_dual_mov_b32 v24, v31
	s_xor_b32 exec_lo, exec_lo, s35
; %bb.16:                               ;   in Loop: Header=BB5_4 Depth=1
	v_dual_mov_b32 v22, s28 :: v_dual_mov_b32 v24, v4
	v_mov_b32_e32 v2, v4
	s_or_b32 s34, s34, exec_lo
; %bb.17:                               ;   in Loop: Header=BB5_4 Depth=1
	s_or_b32 exec_lo, exec_lo, s35
	s_delay_alu instid0(SALU_CYCLE_1)
	s_and_b32 exec_lo, exec_lo, s34
	s_cbranch_execz .LBB5_20
; %bb.18:                               ;   in Loop: Header=BB5_4 Depth=1
	v_add_nc_u64_e32 v[26:27], v[20:21], v[6:7]
	v_dual_ashrrev_i32 v23, 31, v22 :: v_dual_mov_b32 v17, v16
	v_mov_b32_e32 v13, v12
	s_mov_b32 s34, 0
	s_delay_alu instid0(VALU_DEP_2)
	v_lshl_add_u64 v[26:27], v[22:23], 3, v[26:27]
.LBB5_19:                               ;   Parent Loop BB5_4 Depth=1
                                        ; =>  This Inner Loop Header: Depth=2
	s_delay_alu instid0(VALU_DEP_1) | instskip(SKIP_2) | instid1(VALU_DEP_3)
	v_ashrrev_i32_e32 v25, 31, v24
	v_add_nc_u32_e32 v22, 0x400, v22
	v_add_nc_u32_e32 v2, 0x400, v2
	v_mul_u64_e32 v[24:25], s[20:21], v[24:25]
	s_delay_alu instid0(VALU_DEP_2) | instskip(SKIP_1) | instid1(VALU_DEP_2)
	v_cmp_le_i32_e32 vcc_lo, s17, v2
	s_or_b32 s34, vcc_lo, s34
	v_lshl_add_u64 v[24:25], v[24:25], 3, v[18:19]
	flat_load_b64 v[34:35], v[24:25]
	flat_load_b64 v[36:37], v[26:27]
	s_wait_loadcnt_dscnt 0x101
	s_wait_xcnt 0x1
	v_pk_mul_f32 v[24:25], v[16:17], v[34:35] op_sel:[0,1] op_sel_hi:[1,0]
	s_delay_alu instid0(VALU_DEP_1) | instskip(SKIP_1) | instid1(VALU_DEP_2)
	v_pk_fma_f32 v[38:39], v[12:13], v[34:35], v[24:25]
	v_pk_fma_f32 v[24:25], v[12:13], v[34:35], v[24:25] neg_lo:[0,0,1] neg_hi:[0,0,1]
	v_mov_b32_e32 v25, v39
	s_wait_loadcnt_dscnt 0x0
	s_delay_alu instid0(VALU_DEP_1)
	v_pk_add_f32 v[24:25], v[36:37], v[24:25]
	flat_store_b64 v[26:27], v[24:25]
	s_wait_xcnt 0x0
	v_add_nc_u64_e32 v[26:27], 0x2000, v[26:27]
	v_add_nc_u32_e32 v24, v22, v0
	s_and_not1_b32 exec_lo, exec_lo, s34
	s_cbranch_execnz .LBB5_19
.LBB5_20:                               ;   in Loop: Header=BB5_4 Depth=1
	s_or_b32 exec_lo, exec_lo, s6
	s_mov_b32 s6, 0
.LBB5_21:                               ;   in Loop: Header=BB5_4 Depth=1
	s_delay_alu instid0(SALU_CYCLE_1)
	s_and_b32 vcc_lo, exec_lo, s6
	s_cbranch_vccz .LBB5_3
; %bb.22:                               ;   in Loop: Header=BB5_4 Depth=1
	v_mov_b64_e32 v[22:23], 0
	v_mov_b32_e32 v9, v0
	s_wait_xcnt 0x0
	s_and_saveexec_b32 s38, s1
	s_cbranch_execz .LBB5_34
; %bb.23:                               ;   in Loop: Header=BB5_4 Depth=1
	s_mov_b32 s34, 0
                                        ; implicit-def: $vgpr9
	s_and_saveexec_b32 s6, s2
	s_delay_alu instid0(SALU_CYCLE_1)
	s_xor_b32 s39, exec_lo, s6
	s_cbranch_execnz .LBB5_26
; %bb.24:                               ;   in Loop: Header=BB5_4 Depth=1
	s_or_saveexec_b32 s6, s39
	v_mov_b32_e32 v22, v30
	s_xor_b32 exec_lo, exec_lo, s6
	s_cbranch_execnz .LBB5_29
.LBB5_25:                               ;   in Loop: Header=BB5_4 Depth=1
	s_or_b32 exec_lo, exec_lo, s6
	v_mov_b32_e32 v2, v30
	s_and_saveexec_b32 s6, s34
	s_cbranch_execnz .LBB5_30
	s_branch .LBB5_33
.LBB5_26:                               ;   in Loop: Header=BB5_4 Depth=1
	v_dual_mov_b32 v13, v12 :: v_dual_mov_b32 v17, v16
	v_mov_b32_e32 v9, v29
	s_mov_b32 s40, 0
	s_movk_i32 s34, 0x400
	s_mov_b32 s6, s40
.LBB5_27:                               ;   Parent Loop BB5_4 Depth=1
                                        ; =>  This Inner Loop Header: Depth=2
	v_dual_mov_b32 v23, v3 :: v_dual_bitop2_b32 v22, s34, v1 bitop3:0x54
	v_or_b32_e32 v2, s6, v0
	s_mov_b32 s35, s7
	v_lshl_add_u64 v[26:27], s[6:7], 3, v[14:15]
	v_lshl_add_u64 v[34:35], s[34:35], 3, v[14:15]
	v_mul_u64_e32 v[22:23], s[24:25], v[22:23]
	v_mul_u64_e32 v[24:25], s[20:21], v[2:3]
	s_add_co_i32 s35, s34, 0x800
	s_addk_co_i32 s6, 0x800
	v_dual_mov_b32 v2, s34 :: v_dual_add_nc_u32 v9, -2, v9
	s_mov_b32 s34, s35
	s_delay_alu instid0(VALU_DEP_1) | instskip(SKIP_1) | instid1(VALU_DEP_4)
	v_cmp_eq_u32_e32 vcc_lo, 0, v9
	s_or_b32 s40, vcc_lo, s40
	v_lshl_add_u64 v[22:23], v[22:23], 3, v[18:19]
	s_delay_alu instid0(VALU_DEP_4)
	v_lshl_add_u64 v[24:25], v[24:25], 3, v[18:19]
	s_clause 0x1
	flat_load_b64 v[36:37], v[22:23]
	flat_load_b64 v[38:39], v[24:25]
	s_clause 0x1
	flat_load_b64 v[40:41], v[26:27]
	flat_load_b64 v[42:43], v[34:35]
	s_wait_loadcnt_dscnt 0x202
	s_wait_xcnt 0x3
	v_dual_mov_b32 v23, v36 :: v_dual_mov_b32 v36, v39
	s_wait_loadcnt_dscnt 0x101
	s_wait_xcnt 0x2
	v_dual_mov_b32 v24, v40 :: v_dual_mov_b32 v22, v38
	s_wait_loadcnt_dscnt 0x0
	v_dual_mov_b32 v25, v42 :: v_dual_mov_b32 v42, v41
	v_pk_mul_f32 v[38:39], v[16:17], v[36:37]
	v_pk_mul_f32 v[36:37], v[12:13], v[36:37]
	s_delay_alu instid0(VALU_DEP_2) | instskip(NEXT) | instid1(VALU_DEP_2)
	v_pk_fma_f32 v[38:39], v[12:13], v[22:23], v[38:39] neg_lo:[0,0,1] neg_hi:[0,0,1]
	v_pk_fma_f32 v[22:23], v[16:17], v[22:23], v[36:37]
	s_delay_alu instid0(VALU_DEP_2) | instskip(NEXT) | instid1(VALU_DEP_2)
	v_pk_add_f32 v[24:25], v[24:25], v[38:39]
	v_pk_add_f32 v[22:23], v[22:23], v[42:43]
	s_delay_alu instid0(VALU_DEP_1) | instskip(NEXT) | instid1(VALU_DEP_3)
	v_dual_mov_b32 v36, v24 :: v_dual_mov_b32 v37, v22
	v_mov_b32_e32 v22, v25
	s_clause 0x1
	flat_store_b64 v[26:27], v[36:37]
	flat_store_b64 v[34:35], v[22:23]
	s_wait_xcnt 0x0
	s_and_not1_b32 exec_lo, exec_lo, s40
	s_cbranch_execnz .LBB5_27
; %bb.28:                               ;   in Loop: Header=BB5_4 Depth=1
	s_or_b32 exec_lo, exec_lo, s40
	v_add3_u32 v9, v2, v0, 0x400
	s_and_b32 s34, s4, exec_lo
	s_or_saveexec_b32 s6, s39
	v_mov_b32_e32 v22, v30
	s_xor_b32 exec_lo, exec_lo, s6
	s_cbranch_execz .LBB5_25
.LBB5_29:                               ;   in Loop: Header=BB5_4 Depth=1
	v_mov_b32_e32 v22, 0
	s_or_b32 s34, s34, exec_lo
	s_or_b32 exec_lo, exec_lo, s6
	v_mov_b32_e32 v2, v30
	s_and_saveexec_b32 s6, s34
	s_cbranch_execz .LBB5_33
.LBB5_30:                               ;   in Loop: Header=BB5_4 Depth=1
	v_add_nc_u64_e32 v[20:21], v[20:21], v[6:7]
	v_dual_mov_b32 v23, v3 :: v_dual_mov_b32 v17, v16
	v_mov_b32_e32 v13, v12
	s_mov_b32 s34, 0
	s_delay_alu instid0(VALU_DEP_2)
	v_lshl_add_u64 v[20:21], v[22:23], 3, v[20:21]
.LBB5_31:                               ;   Parent Loop BB5_4 Depth=1
                                        ; =>  This Inner Loop Header: Depth=2
	v_add_nc_u32_e32 v2, v0, v22
	v_add_nc_u32_e32 v22, 0x400, v22
	s_delay_alu instid0(VALU_DEP_2) | instskip(NEXT) | instid1(VALU_DEP_2)
	v_mul_u64_e32 v[24:25], s[20:21], v[2:3]
	v_add_nc_u32_e32 v9, v0, v22
	s_delay_alu instid0(VALU_DEP_1) | instskip(SKIP_1) | instid1(VALU_DEP_3)
	v_cmp_le_i32_e32 vcc_lo, s22, v9
	s_or_b32 s34, vcc_lo, s34
	v_lshl_add_u64 v[24:25], v[24:25], 3, v[18:19]
	flat_load_b64 v[26:27], v[24:25]
	flat_load_b64 v[34:35], v[20:21]
	s_wait_loadcnt_dscnt 0x101
	s_wait_xcnt 0x1
	v_pk_mul_f32 v[24:25], v[16:17], v[26:27] op_sel:[0,1] op_sel_hi:[1,0]
	s_delay_alu instid0(VALU_DEP_1) | instskip(SKIP_1) | instid1(VALU_DEP_2)
	v_pk_fma_f32 v[36:37], v[12:13], v[26:27], v[24:25]
	v_pk_fma_f32 v[24:25], v[12:13], v[26:27], v[24:25] neg_lo:[0,0,1] neg_hi:[0,0,1]
	v_mov_b32_e32 v25, v37
	s_wait_loadcnt_dscnt 0x0
	s_delay_alu instid0(VALU_DEP_1)
	v_pk_add_f32 v[24:25], v[34:35], v[24:25]
	flat_store_b64 v[20:21], v[24:25]
	s_wait_xcnt 0x0
	v_add_nc_u64_e32 v[20:21], 0x2000, v[20:21]
	s_and_not1_b32 exec_lo, exec_lo, s34
	s_cbranch_execnz .LBB5_31
; %bb.32:                               ;   in Loop: Header=BB5_4 Depth=1
	s_or_b32 exec_lo, exec_lo, s34
	v_mov_b32_e32 v2, v22
.LBB5_33:                               ;   in Loop: Header=BB5_4 Depth=1
	s_or_b32 exec_lo, exec_lo, s6
	s_delay_alu instid0(VALU_DEP_1)
	v_mov_b64_e32 v[22:23], v[2:3]
.LBB5_34:                               ;   in Loop: Header=BB5_4 Depth=1
	s_or_b32 exec_lo, exec_lo, s38
	s_delay_alu instid0(SALU_CYCLE_1)
	s_mov_b32 s6, exec_lo
	v_cmpx_eq_u32_e64 s22, v9
	s_cbranch_execz .LBB5_2
; %bb.35:                               ;   in Loop: Header=BB5_4 Depth=1
	flat_load_b64 v[10:11], v[10:11]
	v_lshl_add_u64 v[14:15], v[22:23], 3, v[14:15]
	flat_load_b32 v2, v[14:15]
	s_wait_loadcnt_dscnt 0x101
	v_mul_f32_e32 v9, v16, v11
	s_delay_alu instid0(VALU_DEP_1) | instskip(SKIP_1) | instid1(VALU_DEP_1)
	v_fma_f32 v9, v12, v10, -v9
	s_wait_loadcnt_dscnt 0x0
	v_add_f32_e32 v2, v2, v9
	flat_store_b64 v[14:15], v[2:3]
	s_branch .LBB5_2
.LBB5_36:
	s_endpgm
	.section	.rodata,"a",@progbits
	.p2align	6, 0x0
	.amdhsa_kernel _ZL18rocblas_her_kernelILi1024EfPKPK19rocblas_complex_numIfEPKPS1_EvbiT0_T1_lllT2_llli
		.amdhsa_group_segment_fixed_size 0
		.amdhsa_private_segment_fixed_size 0
		.amdhsa_kernarg_size 84
		.amdhsa_user_sgpr_count 2
		.amdhsa_user_sgpr_dispatch_ptr 0
		.amdhsa_user_sgpr_queue_ptr 0
		.amdhsa_user_sgpr_kernarg_segment_ptr 1
		.amdhsa_user_sgpr_dispatch_id 0
		.amdhsa_user_sgpr_kernarg_preload_length 0
		.amdhsa_user_sgpr_kernarg_preload_offset 0
		.amdhsa_user_sgpr_private_segment_size 0
		.amdhsa_wavefront_size32 1
		.amdhsa_uses_dynamic_stack 0
		.amdhsa_enable_private_segment 0
		.amdhsa_system_sgpr_workgroup_id_x 1
		.amdhsa_system_sgpr_workgroup_id_y 0
		.amdhsa_system_sgpr_workgroup_id_z 1
		.amdhsa_system_sgpr_workgroup_info 0
		.amdhsa_system_vgpr_workitem_id 0
		.amdhsa_next_free_vgpr 46
		.amdhsa_next_free_sgpr 44
		.amdhsa_named_barrier_count 0
		.amdhsa_reserve_vcc 1
		.amdhsa_float_round_mode_32 0
		.amdhsa_float_round_mode_16_64 0
		.amdhsa_float_denorm_mode_32 3
		.amdhsa_float_denorm_mode_16_64 3
		.amdhsa_fp16_overflow 0
		.amdhsa_memory_ordered 1
		.amdhsa_forward_progress 1
		.amdhsa_inst_pref_size 18
		.amdhsa_round_robin_scheduling 0
		.amdhsa_exception_fp_ieee_invalid_op 0
		.amdhsa_exception_fp_denorm_src 0
		.amdhsa_exception_fp_ieee_div_zero 0
		.amdhsa_exception_fp_ieee_overflow 0
		.amdhsa_exception_fp_ieee_underflow 0
		.amdhsa_exception_fp_ieee_inexact 0
		.amdhsa_exception_int_div_zero 0
	.end_amdhsa_kernel
	.section	.text._ZL18rocblas_her_kernelILi1024EfPKPK19rocblas_complex_numIfEPKPS1_EvbiT0_T1_lllT2_llli,"axG",@progbits,_ZL18rocblas_her_kernelILi1024EfPKPK19rocblas_complex_numIfEPKPS1_EvbiT0_T1_lllT2_llli,comdat
.Lfunc_end5:
	.size	_ZL18rocblas_her_kernelILi1024EfPKPK19rocblas_complex_numIfEPKPS1_EvbiT0_T1_lllT2_llli, .Lfunc_end5-_ZL18rocblas_her_kernelILi1024EfPKPK19rocblas_complex_numIfEPKPS1_EvbiT0_T1_lllT2_llli
                                        ; -- End function
	.set _ZL18rocblas_her_kernelILi1024EfPKPK19rocblas_complex_numIfEPKPS1_EvbiT0_T1_lllT2_llli.num_vgpr, 46
	.set _ZL18rocblas_her_kernelILi1024EfPKPK19rocblas_complex_numIfEPKPS1_EvbiT0_T1_lllT2_llli.num_agpr, 0
	.set _ZL18rocblas_her_kernelILi1024EfPKPK19rocblas_complex_numIfEPKPS1_EvbiT0_T1_lllT2_llli.numbered_sgpr, 44
	.set _ZL18rocblas_her_kernelILi1024EfPKPK19rocblas_complex_numIfEPKPS1_EvbiT0_T1_lllT2_llli.num_named_barrier, 0
	.set _ZL18rocblas_her_kernelILi1024EfPKPK19rocblas_complex_numIfEPKPS1_EvbiT0_T1_lllT2_llli.private_seg_size, 0
	.set _ZL18rocblas_her_kernelILi1024EfPKPK19rocblas_complex_numIfEPKPS1_EvbiT0_T1_lllT2_llli.uses_vcc, 1
	.set _ZL18rocblas_her_kernelILi1024EfPKPK19rocblas_complex_numIfEPKPS1_EvbiT0_T1_lllT2_llli.uses_flat_scratch, 1
	.set _ZL18rocblas_her_kernelILi1024EfPKPK19rocblas_complex_numIfEPKPS1_EvbiT0_T1_lllT2_llli.has_dyn_sized_stack, 0
	.set _ZL18rocblas_her_kernelILi1024EfPKPK19rocblas_complex_numIfEPKPS1_EvbiT0_T1_lllT2_llli.has_recursion, 0
	.set _ZL18rocblas_her_kernelILi1024EfPKPK19rocblas_complex_numIfEPKPS1_EvbiT0_T1_lllT2_llli.has_indirect_call, 0
	.section	.AMDGPU.csdata,"",@progbits
; Kernel info:
; codeLenInByte = 2240
; TotalNumSgprs: 46
; NumVgprs: 46
; ScratchSize: 0
; MemoryBound: 0
; FloatMode: 240
; IeeeMode: 1
; LDSByteSize: 0 bytes/workgroup (compile time only)
; SGPRBlocks: 0
; VGPRBlocks: 2
; NumSGPRsForWavesPerEU: 46
; NumVGPRsForWavesPerEU: 46
; NamedBarCnt: 0
; Occupancy: 16
; WaveLimiterHint : 1
; COMPUTE_PGM_RSRC2:SCRATCH_EN: 0
; COMPUTE_PGM_RSRC2:USER_SGPR: 2
; COMPUTE_PGM_RSRC2:TRAP_HANDLER: 0
; COMPUTE_PGM_RSRC2:TGID_X_EN: 1
; COMPUTE_PGM_RSRC2:TGID_Y_EN: 0
; COMPUTE_PGM_RSRC2:TGID_Z_EN: 1
; COMPUTE_PGM_RSRC2:TIDIG_COMP_CNT: 0
	.section	.text._ZL18rocblas_her_kernelILi1024EPKdPKPK19rocblas_complex_numIdEPKPS3_EvbiT0_T1_lllT2_llli,"axG",@progbits,_ZL18rocblas_her_kernelILi1024EPKdPKPK19rocblas_complex_numIdEPKPS3_EvbiT0_T1_lllT2_llli,comdat
	.globl	_ZL18rocblas_her_kernelILi1024EPKdPKPK19rocblas_complex_numIdEPKPS3_EvbiT0_T1_lllT2_llli ; -- Begin function _ZL18rocblas_her_kernelILi1024EPKdPKPK19rocblas_complex_numIdEPKPS3_EvbiT0_T1_lllT2_llli
	.p2align	8
	.type	_ZL18rocblas_her_kernelILi1024EPKdPKPK19rocblas_complex_numIdEPKPS3_EvbiT0_T1_lllT2_llli,@function
_ZL18rocblas_her_kernelILi1024EPKdPKPK19rocblas_complex_numIdEPKPS3_EvbiT0_T1_lllT2_llli: ; @_ZL18rocblas_her_kernelILi1024EPKdPKPK19rocblas_complex_numIdEPKPS3_EvbiT0_T1_lllT2_llli
; %bb.0:
	s_load_b32 s30, s[0:1], 0x50
	s_bfe_u32 s2, ttmp6, 0x40014
	s_lshr_b32 s3, ttmp7, 16
	s_add_co_i32 s2, s2, 1
	s_bfe_u32 s4, ttmp6, 0x40008
	s_mul_i32 s2, s3, s2
	s_getreg_b32 s16, hwreg(HW_REG_IB_STS2, 6, 4)
	s_add_co_i32 s4, s4, s2
	s_cmp_eq_u32 s16, 0
	s_cselect_b32 s31, s3, s4
	s_wait_kmcnt 0x0
	s_cmp_ge_u32 s31, s30
	s_cbranch_scc1 .LBB6_19
; %bb.1:
	s_clause 0x3
	s_load_b256 s[4:11], s[0:1], 0x8
	s_load_b64 s[2:3], s[0:1], 0x0
	s_load_b64 s[18:19], s[0:1], 0x40
	s_load_b128 s[12:15], s[0:1], 0x30
	s_wait_kmcnt 0x0
	v_cmp_gt_i32_e32 vcc_lo, s3, v0
	v_mov_b32_e32 v7, 0
	s_bitcmp1_b32 s2, 0
	s_cselect_b32 s0, -1, 0
	s_delay_alu instid0(VALU_DEP_1) | instskip(SKIP_3) | instid1(VALU_DEP_1)
	v_dual_cndmask_b32 v4, 0, v0 :: v_dual_mov_b32 v1, v7
	s_bfe_u32 s1, ttmp6, 0x4000c
	s_and_b32 s2, ttmp6, 15
	s_add_co_i32 s1, s1, 1
	v_lshlrev_b32_e32 v6, 4, v4
	v_mul_u64_e32 v[2:3], s[10:11], v[0:1]
	s_mul_i32 s1, ttmp9, s1
	s_xor_b32 s33, s0, -1
	s_add_co_i32 s2, s2, s1
	s_cmp_eq_u32 s16, 0
	s_cselect_b32 s16, ttmp9, s2
	s_lshl_b64 s[18:19], s[18:19], 4
	s_ashr_i32 s17, s16, 31
	s_add_co_i32 s0, s16, 1
	s_mul_u64 s[14:15], s[14:15], s[16:17]
	s_ashr_i32 s1, s0, 31
	s_lshl_b64 s[20:21], s[14:15], 4
	s_lshl_b64 s[22:23], s[0:1], 4
	s_add_nc_u64 s[20:21], s[20:21], s[18:19]
	v_add_nc_u32_e32 v1, s0, v0
	s_add_nc_u64 s[0:1], s[20:21], s[22:23]
	v_add_nc_u64_e32 v[8:9], s[20:21], v[6:7]
	v_add_nc_u64_e32 v[10:11], s[0:1], v[6:7]
	s_lshl_b64 s[8:9], s[8:9], 4
	v_cmp_eq_u32_e64 s0, 0, v0
	v_cmp_gt_i32_e64 s1, s16, v0
	v_lshlrev_b32_e32 v6, 4, v4
	s_mul_u64 s[22:23], s[10:11], s[16:17]
	v_or_b32_e32 v8, 8, v8
	v_or_b32_e32 v10, 8, v10
	v_cmp_gt_i32_e64 s2, s3, v1
	s_lshl_b64 s[20:21], s[10:11], 14
	s_lshl_b64 s[22:23], s[22:23], 4
	v_lshl_add_u64 v[12:13], v[2:3], 4, s[8:9]
	s_delay_alu instid0(VALU_DEP_1)
	v_or_b32_e32 v12, 8, v12
	s_branch .LBB6_4
.LBB6_2:                                ;   in Loop: Header=BB6_4 Depth=1
	s_wait_xcnt 0x0
	s_or_b32 exec_lo, exec_lo, s24
.LBB6_3:                                ;   in Loop: Header=BB6_4 Depth=1
	s_wait_xcnt 0x0
	s_add_co_i32 s31, s31, 0x10000
	s_delay_alu instid0(SALU_CYCLE_1)
	s_cmp_lt_u32 s31, s30
	s_cbranch_scc0 .LBB6_19
.LBB6_4:                                ; =>This Loop Header: Depth=1
                                        ;     Child Loop BB6_10 Depth 2
                                        ;     Child Loop BB6_15 Depth 2
	global_load_b64 v[16:17], v7, s[4:5]
	s_wait_loadcnt 0x0
	v_cmp_eq_f64_e32 vcc_lo, 0, v[16:17]
	s_cbranch_vccnz .LBB6_3
; %bb.5:                                ;   in Loop: Header=BB6_4 Depth=1
	s_load_b64 s[24:25], s[6:7], s31 offset:0x0 scale_offset
	s_and_b32 vcc_lo, exec_lo, s33
	s_wait_kmcnt 0x0
	s_add_nc_u64 s[28:29], s[24:25], s[8:9]
	s_delay_alu instid0(SALU_CYCLE_1)
	s_add_nc_u64 s[26:27], s[28:29], s[22:23]
	flat_load_b128 v[2:5], v7, s[26:27]
	s_wait_xcnt 0x0
	s_load_b64 s[26:27], s[12:13], s31 offset:0x0 scale_offset
	s_wait_kmcnt 0x0
	s_add_nc_u64 s[34:35], s[26:27], s[18:19]
	s_wait_loadcnt_dscnt 0x0
	v_mul_f64_e32 v[14:15], 0, v[4:5]
	v_mul_f64_e32 v[18:19], v[16:17], v[4:5]
	s_delay_alu instid0(VALU_DEP_2) | instskip(NEXT) | instid1(VALU_DEP_2)
	v_fmac_f64_e32 v[14:15], v[16:17], v[2:3]
	v_fma_f64 v[16:17], v[2:3], 0, -v[18:19]
	v_add_nc_u64_e32 v[18:19], s[34:35], v[6:7]
	s_mov_b32 s34, -1
	s_delay_alu instid0(VALU_DEP_1)
	v_lshl_add_u64 v[18:19], s[14:15], 4, v[18:19]
	s_cbranch_vccz .LBB6_12
; %bb.6:                                ;   in Loop: Header=BB6_4 Depth=1
	s_and_saveexec_b32 s34, s0
	s_cbranch_execz .LBB6_8
; %bb.7:                                ;   in Loop: Header=BB6_4 Depth=1
	s_delay_alu instid0(VALU_DEP_1) | instskip(NEXT) | instid1(VALU_DEP_4)
	v_lshl_add_u64 v[24:25], s[16:17], 4, v[18:19]
	v_mul_f64_e32 v[22:23], v[4:5], v[16:17]
	flat_load_b64 v[20:21], v[24:25]
	v_fma_f64 v[22:23], v[2:3], v[14:15], -v[22:23]
	s_wait_loadcnt_dscnt 0x0
	s_delay_alu instid0(VALU_DEP_1)
	v_add_f64_e32 v[20:21], v[22:23], v[20:21]
	v_dual_mov_b32 v22, v7 :: v_dual_mov_b32 v23, v7
	flat_store_b128 v[24:25], v[20:23]
.LBB6_8:                                ;   in Loop: Header=BB6_4 Depth=1
	s_wait_xcnt 0x0
	s_or_b32 exec_lo, exec_lo, s34
	s_and_saveexec_b32 s34, s2
	s_cbranch_execz .LBB6_11
; %bb.9:                                ;   in Loop: Header=BB6_4 Depth=1
	v_add_nc_u64_e32 v[20:21], s[26:27], v[10:11]
	v_mov_b32_e32 v22, v1
	s_mov_b32 s35, 0
.LBB6_10:                               ;   Parent Loop BB6_4 Depth=1
                                        ; =>  This Inner Loop Header: Depth=2
	s_delay_alu instid0(VALU_DEP_1) | instskip(NEXT) | instid1(VALU_DEP_1)
	v_ashrrev_i32_e32 v23, 31, v22
	v_mul_u64_e32 v[24:25], s[10:11], v[22:23]
	v_add_nc_u32_e32 v22, 0x400, v22
	s_delay_alu instid0(VALU_DEP_1) | instskip(SKIP_1) | instid1(VALU_DEP_3)
	v_cmp_le_i32_e32 vcc_lo, s3, v22
	s_or_b32 s35, vcc_lo, s35
	v_lshl_add_u64 v[32:33], v[24:25], 4, s[28:29]
	flat_load_b128 v[24:27], v[32:33]
	flat_load_b128 v[28:31], v[20:21] offset:-8
	s_wait_loadcnt_dscnt 0x101
	s_wait_xcnt 0x1
	v_mul_f64_e32 v[32:33], v[16:17], v[26:27]
	v_mul_f64_e32 v[26:27], v[14:15], v[26:27]
	s_delay_alu instid0(VALU_DEP_2) | instskip(NEXT) | instid1(VALU_DEP_2)
	v_fma_f64 v[32:33], v[14:15], v[24:25], -v[32:33]
	v_fmac_f64_e32 v[26:27], v[16:17], v[24:25]
	s_wait_loadcnt_dscnt 0x0
	s_delay_alu instid0(VALU_DEP_2) | instskip(NEXT) | instid1(VALU_DEP_2)
	v_add_f64_e32 v[24:25], v[28:29], v[32:33]
	v_add_f64_e32 v[26:27], v[26:27], v[30:31]
	flat_store_b128 v[20:21], v[24:27] offset:-8
	s_wait_xcnt 0x0
	v_add_nc_u64_e32 v[20:21], 0x4000, v[20:21]
	s_and_not1_b32 exec_lo, exec_lo, s35
	s_cbranch_execnz .LBB6_10
.LBB6_11:                               ;   in Loop: Header=BB6_4 Depth=1
	s_or_b32 exec_lo, exec_lo, s34
	s_mov_b32 s34, 0
.LBB6_12:                               ;   in Loop: Header=BB6_4 Depth=1
	s_delay_alu instid0(SALU_CYCLE_1)
	s_and_b32 vcc_lo, exec_lo, s34
	s_cbranch_vccz .LBB6_3
; %bb.13:                               ;   in Loop: Header=BB6_4 Depth=1
	v_mov_b64_e32 v[24:25], 0
	v_mov_b32_e32 v26, v0
	s_and_saveexec_b32 s28, s1
	s_cbranch_execz .LBB6_17
; %bb.14:                               ;   in Loop: Header=BB6_4 Depth=1
	v_add_nc_u64_e32 v[20:21], s[24:25], v[12:13]
	v_add_nc_u64_e32 v[22:23], s[26:27], v[8:9]
	s_mov_b32 s24, 0
	s_mov_b32 s25, 0
.LBB6_15:                               ;   Parent Loop BB6_4 Depth=1
                                        ; =>  This Inner Loop Header: Depth=2
	flat_load_b128 v[24:27], v[20:21] offset:-8
	flat_load_b128 v[28:31], v[22:23] offset:-8
	s_addk_co_i32 s25, 0x400
	s_wait_xcnt 0x1
	v_add_nc_u64_e32 v[20:21], s[20:21], v[20:21]
	s_wait_loadcnt_dscnt 0x101
	v_mul_f64_e32 v[32:33], v[16:17], v[26:27]
	v_mul_f64_e32 v[26:27], v[14:15], v[26:27]
	s_delay_alu instid0(VALU_DEP_1) | instskip(SKIP_1) | instid1(VALU_DEP_1)
	v_fmac_f64_e32 v[26:27], v[16:17], v[24:25]
	s_wait_loadcnt_dscnt 0x0
	v_dual_add_f64 v[30:31], v[26:27], v[30:31] :: v_dual_add_nc_u32 v26, s25, v0
	s_delay_alu instid0(VALU_DEP_4) | instskip(NEXT) | instid1(VALU_DEP_2)
	v_dual_fma_f64 v[32:33], v[14:15], v[24:25], -v[32:33] :: v_dual_mov_b32 v24, s25
	v_cmp_le_i32_e32 vcc_lo, s16, v26
	s_or_b32 s24, vcc_lo, s24
	s_delay_alu instid0(VALU_DEP_2)
	v_add_f64_e32 v[28:29], v[28:29], v[32:33]
	flat_store_b128 v[22:23], v[28:31] offset:-8
	s_wait_xcnt 0x0
	v_add_nc_u64_e32 v[22:23], 0x4000, v[22:23]
	s_and_not1_b32 exec_lo, exec_lo, s24
	s_cbranch_execnz .LBB6_15
; %bb.16:                               ;   in Loop: Header=BB6_4 Depth=1
	s_or_b32 exec_lo, exec_lo, s24
	v_mov_b32_e32 v25, v7
.LBB6_17:                               ;   in Loop: Header=BB6_4 Depth=1
	s_or_b32 exec_lo, exec_lo, s28
	s_delay_alu instid0(SALU_CYCLE_1)
	s_mov_b32 s24, exec_lo
	v_cmpx_eq_u32_e64 s16, v26
	s_cbranch_execz .LBB6_2
; %bb.18:                               ;   in Loop: Header=BB6_4 Depth=1
	v_lshl_add_u64 v[18:19], v[24:25], 4, v[18:19]
	v_mul_f64_e32 v[4:5], v[4:5], v[16:17]
	flat_load_b64 v[20:21], v[18:19]
	v_fma_f64 v[2:3], v[2:3], v[14:15], -v[4:5]
	v_dual_mov_b32 v4, v7 :: v_dual_mov_b32 v5, v7
	s_wait_loadcnt_dscnt 0x0
	s_delay_alu instid0(VALU_DEP_2)
	v_add_f64_e32 v[2:3], v[2:3], v[20:21]
	flat_store_b128 v[18:19], v[2:5]
	s_branch .LBB6_2
.LBB6_19:
	s_endpgm
	.section	.rodata,"a",@progbits
	.p2align	6, 0x0
	.amdhsa_kernel _ZL18rocblas_her_kernelILi1024EPKdPKPK19rocblas_complex_numIdEPKPS3_EvbiT0_T1_lllT2_llli
		.amdhsa_group_segment_fixed_size 0
		.amdhsa_private_segment_fixed_size 0
		.amdhsa_kernarg_size 84
		.amdhsa_user_sgpr_count 2
		.amdhsa_user_sgpr_dispatch_ptr 0
		.amdhsa_user_sgpr_queue_ptr 0
		.amdhsa_user_sgpr_kernarg_segment_ptr 1
		.amdhsa_user_sgpr_dispatch_id 0
		.amdhsa_user_sgpr_kernarg_preload_length 0
		.amdhsa_user_sgpr_kernarg_preload_offset 0
		.amdhsa_user_sgpr_private_segment_size 0
		.amdhsa_wavefront_size32 1
		.amdhsa_uses_dynamic_stack 0
		.amdhsa_enable_private_segment 0
		.amdhsa_system_sgpr_workgroup_id_x 1
		.amdhsa_system_sgpr_workgroup_id_y 0
		.amdhsa_system_sgpr_workgroup_id_z 1
		.amdhsa_system_sgpr_workgroup_info 0
		.amdhsa_system_vgpr_workitem_id 0
		.amdhsa_next_free_vgpr 34
		.amdhsa_next_free_sgpr 36
		.amdhsa_named_barrier_count 0
		.amdhsa_reserve_vcc 1
		.amdhsa_float_round_mode_32 0
		.amdhsa_float_round_mode_16_64 0
		.amdhsa_float_denorm_mode_32 3
		.amdhsa_float_denorm_mode_16_64 3
		.amdhsa_fp16_overflow 0
		.amdhsa_memory_ordered 1
		.amdhsa_forward_progress 1
		.amdhsa_inst_pref_size 8
		.amdhsa_round_robin_scheduling 0
		.amdhsa_exception_fp_ieee_invalid_op 0
		.amdhsa_exception_fp_denorm_src 0
		.amdhsa_exception_fp_ieee_div_zero 0
		.amdhsa_exception_fp_ieee_overflow 0
		.amdhsa_exception_fp_ieee_underflow 0
		.amdhsa_exception_fp_ieee_inexact 0
		.amdhsa_exception_int_div_zero 0
	.end_amdhsa_kernel
	.section	.text._ZL18rocblas_her_kernelILi1024EPKdPKPK19rocblas_complex_numIdEPKPS3_EvbiT0_T1_lllT2_llli,"axG",@progbits,_ZL18rocblas_her_kernelILi1024EPKdPKPK19rocblas_complex_numIdEPKPS3_EvbiT0_T1_lllT2_llli,comdat
.Lfunc_end6:
	.size	_ZL18rocblas_her_kernelILi1024EPKdPKPK19rocblas_complex_numIdEPKPS3_EvbiT0_T1_lllT2_llli, .Lfunc_end6-_ZL18rocblas_her_kernelILi1024EPKdPKPK19rocblas_complex_numIdEPKPS3_EvbiT0_T1_lllT2_llli
                                        ; -- End function
	.set _ZL18rocblas_her_kernelILi1024EPKdPKPK19rocblas_complex_numIdEPKPS3_EvbiT0_T1_lllT2_llli.num_vgpr, 34
	.set _ZL18rocblas_her_kernelILi1024EPKdPKPK19rocblas_complex_numIdEPKPS3_EvbiT0_T1_lllT2_llli.num_agpr, 0
	.set _ZL18rocblas_her_kernelILi1024EPKdPKPK19rocblas_complex_numIdEPKPS3_EvbiT0_T1_lllT2_llli.numbered_sgpr, 36
	.set _ZL18rocblas_her_kernelILi1024EPKdPKPK19rocblas_complex_numIdEPKPS3_EvbiT0_T1_lllT2_llli.num_named_barrier, 0
	.set _ZL18rocblas_her_kernelILi1024EPKdPKPK19rocblas_complex_numIdEPKPS3_EvbiT0_T1_lllT2_llli.private_seg_size, 0
	.set _ZL18rocblas_her_kernelILi1024EPKdPKPK19rocblas_complex_numIdEPKPS3_EvbiT0_T1_lllT2_llli.uses_vcc, 1
	.set _ZL18rocblas_her_kernelILi1024EPKdPKPK19rocblas_complex_numIdEPKPS3_EvbiT0_T1_lllT2_llli.uses_flat_scratch, 0
	.set _ZL18rocblas_her_kernelILi1024EPKdPKPK19rocblas_complex_numIdEPKPS3_EvbiT0_T1_lllT2_llli.has_dyn_sized_stack, 0
	.set _ZL18rocblas_her_kernelILi1024EPKdPKPK19rocblas_complex_numIdEPKPS3_EvbiT0_T1_lllT2_llli.has_recursion, 0
	.set _ZL18rocblas_her_kernelILi1024EPKdPKPK19rocblas_complex_numIdEPKPS3_EvbiT0_T1_lllT2_llli.has_indirect_call, 0
	.section	.AMDGPU.csdata,"",@progbits
; Kernel info:
; codeLenInByte = 1004
; TotalNumSgprs: 38
; NumVgprs: 34
; ScratchSize: 0
; MemoryBound: 0
; FloatMode: 240
; IeeeMode: 1
; LDSByteSize: 0 bytes/workgroup (compile time only)
; SGPRBlocks: 0
; VGPRBlocks: 2
; NumSGPRsForWavesPerEU: 38
; NumVGPRsForWavesPerEU: 34
; NamedBarCnt: 0
; Occupancy: 16
; WaveLimiterHint : 1
; COMPUTE_PGM_RSRC2:SCRATCH_EN: 0
; COMPUTE_PGM_RSRC2:USER_SGPR: 2
; COMPUTE_PGM_RSRC2:TRAP_HANDLER: 0
; COMPUTE_PGM_RSRC2:TGID_X_EN: 1
; COMPUTE_PGM_RSRC2:TGID_Y_EN: 0
; COMPUTE_PGM_RSRC2:TGID_Z_EN: 1
; COMPUTE_PGM_RSRC2:TIDIG_COMP_CNT: 0
	.section	.text._ZL18rocblas_her_kernelILi1024EdPKPK19rocblas_complex_numIdEPKPS1_EvbiT0_T1_lllT2_llli,"axG",@progbits,_ZL18rocblas_her_kernelILi1024EdPKPK19rocblas_complex_numIdEPKPS1_EvbiT0_T1_lllT2_llli,comdat
	.globl	_ZL18rocblas_her_kernelILi1024EdPKPK19rocblas_complex_numIdEPKPS1_EvbiT0_T1_lllT2_llli ; -- Begin function _ZL18rocblas_her_kernelILi1024EdPKPK19rocblas_complex_numIdEPKPS1_EvbiT0_T1_lllT2_llli
	.p2align	8
	.type	_ZL18rocblas_her_kernelILi1024EdPKPK19rocblas_complex_numIdEPKPS1_EvbiT0_T1_lllT2_llli,@function
_ZL18rocblas_her_kernelILi1024EdPKPK19rocblas_complex_numIdEPKPS1_EvbiT0_T1_lllT2_llli: ; @_ZL18rocblas_her_kernelILi1024EdPKPK19rocblas_complex_numIdEPKPS1_EvbiT0_T1_lllT2_llli
; %bb.0:
	s_load_b32 s30, s[0:1], 0x50
	s_bfe_u32 s2, ttmp6, 0x40014
	s_lshr_b32 s3, ttmp7, 16
	s_add_co_i32 s2, s2, 1
	s_bfe_u32 s4, ttmp6, 0x40008
	s_mul_i32 s2, s3, s2
	s_getreg_b32 s16, hwreg(HW_REG_IB_STS2, 6, 4)
	s_add_co_i32 s4, s4, s2
	s_cmp_eq_u32 s16, 0
	s_cselect_b32 s31, s3, s4
	s_wait_kmcnt 0x0
	s_cmp_ge_u32 s31, s30
	s_cbranch_scc1 .LBB7_19
; %bb.1:
	s_clause 0x3
	s_load_b256 s[4:11], s[0:1], 0x8
	s_load_b64 s[2:3], s[0:1], 0x0
	s_load_b64 s[18:19], s[0:1], 0x40
	s_load_b128 s[12:15], s[0:1], 0x30
	s_wait_xcnt 0x0
	v_cmp_eq_u32_e64 s0, 0, v0
	s_wait_kmcnt 0x0
	v_cmp_neq_f64_e64 s34, s[4:5], 0
	v_cmp_gt_i32_e32 vcc_lo, s3, v0
	v_mov_b32_e32 v7, 0
	s_bitcmp1_b32 s2, 0
	s_cselect_b32 s1, -1, 0
	s_delay_alu instid0(VALU_DEP_1) | instskip(SKIP_3) | instid1(VALU_DEP_1)
	v_dual_cndmask_b32 v4, 0, v0 :: v_dual_mov_b32 v1, v7
	s_bfe_u32 s2, ttmp6, 0x4000c
	s_and_b32 s17, ttmp6, 15
	s_add_co_i32 s2, s2, 1
	v_lshlrev_b32_e32 v6, 4, v4
	v_mul_u64_e32 v[2:3], s[10:11], v[0:1]
	s_mul_i32 s2, ttmp9, s2
	s_xor_b32 s33, s1, -1
	s_add_co_i32 s17, s17, s2
	s_cmp_eq_u32 s16, 0
	s_cselect_b32 s16, ttmp9, s17
	s_lshl_b64 s[18:19], s[18:19], 4
	s_ashr_i32 s17, s16, 31
	s_add_co_i32 s20, s16, 1
	s_mul_u64 s[14:15], s[14:15], s[16:17]
	s_ashr_i32 s21, s20, 31
	s_lshl_b64 s[22:23], s[14:15], 4
	s_lshl_b64 s[24:25], s[20:21], 4
	s_add_nc_u64 s[22:23], s[22:23], s[18:19]
	v_add_nc_u32_e32 v1, s20, v0
	s_add_nc_u64 s[20:21], s[22:23], s[24:25]
	s_lshl_b64 s[8:9], s[8:9], 4
	v_add_nc_u64_e32 v[8:9], s[22:23], v[6:7]
	v_add_nc_u64_e32 v[10:11], s[20:21], v[6:7]
	v_cmp_gt_i32_e64 s1, s16, v0
	v_lshlrev_b32_e32 v6, 4, v4
	s_mul_u64 s[22:23], s[10:11], s[16:17]
	s_lshl_b64 s[20:21], s[10:11], 14
	s_lshl_b64 s[22:23], s[22:23], 4
	v_or_b32_e32 v8, 8, v8
	v_or_b32_e32 v10, 8, v10
	v_cmp_gt_i32_e64 s2, s3, v1
	v_lshl_add_u64 v[12:13], v[2:3], 4, s[8:9]
	s_delay_alu instid0(VALU_DEP_1)
	v_or_b32_e32 v12, 8, v12
	s_branch .LBB7_4
.LBB7_2:                                ;   in Loop: Header=BB7_4 Depth=1
	s_wait_xcnt 0x0
	s_or_b32 exec_lo, exec_lo, s24
.LBB7_3:                                ;   in Loop: Header=BB7_4 Depth=1
	s_wait_xcnt 0x0
	s_add_co_i32 s31, s31, 0x10000
	s_delay_alu instid0(SALU_CYCLE_1)
	s_cmp_lt_u32 s31, s30
	s_cbranch_scc0 .LBB7_19
.LBB7_4:                                ; =>This Loop Header: Depth=1
                                        ;     Child Loop BB7_10 Depth 2
                                        ;     Child Loop BB7_15 Depth 2
	s_and_not1_b32 vcc_lo, exec_lo, s34
	s_cbranch_vccnz .LBB7_3
; %bb.5:                                ;   in Loop: Header=BB7_4 Depth=1
	s_load_b64 s[24:25], s[6:7], s31 offset:0x0 scale_offset
	s_and_b32 vcc_lo, exec_lo, s33
	s_mov_b32 s35, -1
	s_wait_kmcnt 0x0
	s_add_nc_u64 s[28:29], s[24:25], s[8:9]
	s_delay_alu instid0(SALU_CYCLE_1)
	s_add_nc_u64 s[26:27], s[28:29], s[22:23]
	flat_load_b128 v[2:5], v7, s[26:27]
	s_wait_xcnt 0x0
	s_load_b64 s[26:27], s[12:13], s31 offset:0x0 scale_offset
	s_wait_kmcnt 0x0
	s_add_nc_u64 s[36:37], s[26:27], s[18:19]
	s_delay_alu instid0(SALU_CYCLE_1) | instskip(NEXT) | instid1(VALU_DEP_1)
	v_add_nc_u64_e32 v[18:19], s[36:37], v[6:7]
	v_lshl_add_u64 v[18:19], s[14:15], 4, v[18:19]
	s_wait_loadcnt_dscnt 0x0
	v_mul_f64_e32 v[14:15], 0, v[4:5]
	v_mul_f64_e32 v[16:17], s[4:5], v[4:5]
	s_delay_alu instid0(VALU_DEP_2) | instskip(NEXT) | instid1(VALU_DEP_2)
	v_fmac_f64_e32 v[14:15], s[4:5], v[2:3]
	v_fma_f64 v[16:17], v[2:3], 0, -v[16:17]
	s_cbranch_vccz .LBB7_12
; %bb.6:                                ;   in Loop: Header=BB7_4 Depth=1
	s_and_saveexec_b32 s35, s0
	s_cbranch_execz .LBB7_8
; %bb.7:                                ;   in Loop: Header=BB7_4 Depth=1
	v_lshl_add_u64 v[24:25], s[16:17], 4, v[18:19]
	s_delay_alu instid0(VALU_DEP_2) | instskip(SKIP_3) | instid1(VALU_DEP_1)
	v_mul_f64_e32 v[22:23], v[4:5], v[16:17]
	flat_load_b64 v[20:21], v[24:25]
	v_fma_f64 v[22:23], v[2:3], v[14:15], -v[22:23]
	s_wait_loadcnt_dscnt 0x0
	v_add_f64_e32 v[20:21], v[22:23], v[20:21]
	v_dual_mov_b32 v22, v7 :: v_dual_mov_b32 v23, v7
	flat_store_b128 v[24:25], v[20:23]
.LBB7_8:                                ;   in Loop: Header=BB7_4 Depth=1
	s_wait_xcnt 0x0
	s_or_b32 exec_lo, exec_lo, s35
	s_and_saveexec_b32 s35, s2
	s_cbranch_execz .LBB7_11
; %bb.9:                                ;   in Loop: Header=BB7_4 Depth=1
	v_add_nc_u64_e32 v[20:21], s[26:27], v[10:11]
	v_mov_b32_e32 v22, v1
	s_mov_b32 s36, 0
.LBB7_10:                               ;   Parent Loop BB7_4 Depth=1
                                        ; =>  This Inner Loop Header: Depth=2
	s_delay_alu instid0(VALU_DEP_1) | instskip(NEXT) | instid1(VALU_DEP_1)
	v_ashrrev_i32_e32 v23, 31, v22
	v_mul_u64_e32 v[24:25], s[10:11], v[22:23]
	v_add_nc_u32_e32 v22, 0x400, v22
	s_delay_alu instid0(VALU_DEP_1) | instskip(SKIP_1) | instid1(VALU_DEP_3)
	v_cmp_le_i32_e32 vcc_lo, s3, v22
	s_or_b32 s36, vcc_lo, s36
	v_lshl_add_u64 v[32:33], v[24:25], 4, s[28:29]
	flat_load_b128 v[24:27], v[32:33]
	flat_load_b128 v[28:31], v[20:21] offset:-8
	s_wait_loadcnt_dscnt 0x101
	s_wait_xcnt 0x1
	v_mul_f64_e32 v[32:33], v[16:17], v[26:27]
	v_mul_f64_e32 v[26:27], v[14:15], v[26:27]
	s_delay_alu instid0(VALU_DEP_2) | instskip(NEXT) | instid1(VALU_DEP_2)
	v_fma_f64 v[32:33], v[14:15], v[24:25], -v[32:33]
	v_fmac_f64_e32 v[26:27], v[16:17], v[24:25]
	s_wait_loadcnt_dscnt 0x0
	s_delay_alu instid0(VALU_DEP_2) | instskip(NEXT) | instid1(VALU_DEP_2)
	v_add_f64_e32 v[24:25], v[28:29], v[32:33]
	v_add_f64_e32 v[26:27], v[26:27], v[30:31]
	flat_store_b128 v[20:21], v[24:27] offset:-8
	s_wait_xcnt 0x0
	v_add_nc_u64_e32 v[20:21], 0x4000, v[20:21]
	s_and_not1_b32 exec_lo, exec_lo, s36
	s_cbranch_execnz .LBB7_10
.LBB7_11:                               ;   in Loop: Header=BB7_4 Depth=1
	s_or_b32 exec_lo, exec_lo, s35
	s_mov_b32 s35, 0
.LBB7_12:                               ;   in Loop: Header=BB7_4 Depth=1
	s_delay_alu instid0(SALU_CYCLE_1)
	s_and_b32 vcc_lo, exec_lo, s35
	s_cbranch_vccz .LBB7_3
; %bb.13:                               ;   in Loop: Header=BB7_4 Depth=1
	v_mov_b64_e32 v[24:25], 0
	v_mov_b32_e32 v26, v0
	s_and_saveexec_b32 s28, s1
	s_cbranch_execz .LBB7_17
; %bb.14:                               ;   in Loop: Header=BB7_4 Depth=1
	v_add_nc_u64_e32 v[20:21], s[24:25], v[12:13]
	v_add_nc_u64_e32 v[22:23], s[26:27], v[8:9]
	s_mov_b32 s24, 0
	s_mov_b32 s25, 0
.LBB7_15:                               ;   Parent Loop BB7_4 Depth=1
                                        ; =>  This Inner Loop Header: Depth=2
	flat_load_b128 v[24:27], v[20:21] offset:-8
	flat_load_b128 v[28:31], v[22:23] offset:-8
	s_addk_co_i32 s25, 0x400
	s_wait_xcnt 0x1
	v_add_nc_u64_e32 v[20:21], s[20:21], v[20:21]
	s_wait_loadcnt_dscnt 0x101
	v_mul_f64_e32 v[32:33], v[16:17], v[26:27]
	v_mul_f64_e32 v[26:27], v[14:15], v[26:27]
	s_delay_alu instid0(VALU_DEP_1) | instskip(SKIP_1) | instid1(VALU_DEP_1)
	v_fmac_f64_e32 v[26:27], v[16:17], v[24:25]
	s_wait_loadcnt_dscnt 0x0
	v_dual_add_f64 v[30:31], v[26:27], v[30:31] :: v_dual_add_nc_u32 v26, s25, v0
	s_delay_alu instid0(VALU_DEP_4) | instskip(NEXT) | instid1(VALU_DEP_2)
	v_dual_fma_f64 v[32:33], v[14:15], v[24:25], -v[32:33] :: v_dual_mov_b32 v24, s25
	v_cmp_le_i32_e32 vcc_lo, s16, v26
	s_or_b32 s24, vcc_lo, s24
	s_delay_alu instid0(VALU_DEP_2)
	v_add_f64_e32 v[28:29], v[28:29], v[32:33]
	flat_store_b128 v[22:23], v[28:31] offset:-8
	s_wait_xcnt 0x0
	v_add_nc_u64_e32 v[22:23], 0x4000, v[22:23]
	s_and_not1_b32 exec_lo, exec_lo, s24
	s_cbranch_execnz .LBB7_15
; %bb.16:                               ;   in Loop: Header=BB7_4 Depth=1
	s_or_b32 exec_lo, exec_lo, s24
	v_mov_b32_e32 v25, v7
.LBB7_17:                               ;   in Loop: Header=BB7_4 Depth=1
	s_or_b32 exec_lo, exec_lo, s28
	s_delay_alu instid0(SALU_CYCLE_1)
	s_mov_b32 s24, exec_lo
	v_cmpx_eq_u32_e64 s16, v26
	s_cbranch_execz .LBB7_2
; %bb.18:                               ;   in Loop: Header=BB7_4 Depth=1
	v_lshl_add_u64 v[18:19], v[24:25], 4, v[18:19]
	v_mul_f64_e32 v[4:5], v[4:5], v[16:17]
	flat_load_b64 v[20:21], v[18:19]
	v_fma_f64 v[2:3], v[2:3], v[14:15], -v[4:5]
	v_dual_mov_b32 v4, v7 :: v_dual_mov_b32 v5, v7
	s_wait_loadcnt_dscnt 0x0
	s_delay_alu instid0(VALU_DEP_2)
	v_add_f64_e32 v[2:3], v[2:3], v[20:21]
	flat_store_b128 v[18:19], v[2:5]
	s_branch .LBB7_2
.LBB7_19:
	s_endpgm
	.section	.rodata,"a",@progbits
	.p2align	6, 0x0
	.amdhsa_kernel _ZL18rocblas_her_kernelILi1024EdPKPK19rocblas_complex_numIdEPKPS1_EvbiT0_T1_lllT2_llli
		.amdhsa_group_segment_fixed_size 0
		.amdhsa_private_segment_fixed_size 0
		.amdhsa_kernarg_size 84
		.amdhsa_user_sgpr_count 2
		.amdhsa_user_sgpr_dispatch_ptr 0
		.amdhsa_user_sgpr_queue_ptr 0
		.amdhsa_user_sgpr_kernarg_segment_ptr 1
		.amdhsa_user_sgpr_dispatch_id 0
		.amdhsa_user_sgpr_kernarg_preload_length 0
		.amdhsa_user_sgpr_kernarg_preload_offset 0
		.amdhsa_user_sgpr_private_segment_size 0
		.amdhsa_wavefront_size32 1
		.amdhsa_uses_dynamic_stack 0
		.amdhsa_enable_private_segment 0
		.amdhsa_system_sgpr_workgroup_id_x 1
		.amdhsa_system_sgpr_workgroup_id_y 0
		.amdhsa_system_sgpr_workgroup_id_z 1
		.amdhsa_system_sgpr_workgroup_info 0
		.amdhsa_system_vgpr_workitem_id 0
		.amdhsa_next_free_vgpr 34
		.amdhsa_next_free_sgpr 38
		.amdhsa_named_barrier_count 0
		.amdhsa_reserve_vcc 1
		.amdhsa_float_round_mode_32 0
		.amdhsa_float_round_mode_16_64 0
		.amdhsa_float_denorm_mode_32 3
		.amdhsa_float_denorm_mode_16_64 3
		.amdhsa_fp16_overflow 0
		.amdhsa_memory_ordered 1
		.amdhsa_forward_progress 1
		.amdhsa_inst_pref_size 8
		.amdhsa_round_robin_scheduling 0
		.amdhsa_exception_fp_ieee_invalid_op 0
		.amdhsa_exception_fp_denorm_src 0
		.amdhsa_exception_fp_ieee_div_zero 0
		.amdhsa_exception_fp_ieee_overflow 0
		.amdhsa_exception_fp_ieee_underflow 0
		.amdhsa_exception_fp_ieee_inexact 0
		.amdhsa_exception_int_div_zero 0
	.end_amdhsa_kernel
	.section	.text._ZL18rocblas_her_kernelILi1024EdPKPK19rocblas_complex_numIdEPKPS1_EvbiT0_T1_lllT2_llli,"axG",@progbits,_ZL18rocblas_her_kernelILi1024EdPKPK19rocblas_complex_numIdEPKPS1_EvbiT0_T1_lllT2_llli,comdat
.Lfunc_end7:
	.size	_ZL18rocblas_her_kernelILi1024EdPKPK19rocblas_complex_numIdEPKPS1_EvbiT0_T1_lllT2_llli, .Lfunc_end7-_ZL18rocblas_her_kernelILi1024EdPKPK19rocblas_complex_numIdEPKPS1_EvbiT0_T1_lllT2_llli
                                        ; -- End function
	.set _ZL18rocblas_her_kernelILi1024EdPKPK19rocblas_complex_numIdEPKPS1_EvbiT0_T1_lllT2_llli.num_vgpr, 34
	.set _ZL18rocblas_her_kernelILi1024EdPKPK19rocblas_complex_numIdEPKPS1_EvbiT0_T1_lllT2_llli.num_agpr, 0
	.set _ZL18rocblas_her_kernelILi1024EdPKPK19rocblas_complex_numIdEPKPS1_EvbiT0_T1_lllT2_llli.numbered_sgpr, 38
	.set _ZL18rocblas_her_kernelILi1024EdPKPK19rocblas_complex_numIdEPKPS1_EvbiT0_T1_lllT2_llli.num_named_barrier, 0
	.set _ZL18rocblas_her_kernelILi1024EdPKPK19rocblas_complex_numIdEPKPS1_EvbiT0_T1_lllT2_llli.private_seg_size, 0
	.set _ZL18rocblas_her_kernelILi1024EdPKPK19rocblas_complex_numIdEPKPS1_EvbiT0_T1_lllT2_llli.uses_vcc, 1
	.set _ZL18rocblas_her_kernelILi1024EdPKPK19rocblas_complex_numIdEPKPS1_EvbiT0_T1_lllT2_llli.uses_flat_scratch, 0
	.set _ZL18rocblas_her_kernelILi1024EdPKPK19rocblas_complex_numIdEPKPS1_EvbiT0_T1_lllT2_llli.has_dyn_sized_stack, 0
	.set _ZL18rocblas_her_kernelILi1024EdPKPK19rocblas_complex_numIdEPKPS1_EvbiT0_T1_lllT2_llli.has_recursion, 0
	.set _ZL18rocblas_her_kernelILi1024EdPKPK19rocblas_complex_numIdEPKPS1_EvbiT0_T1_lllT2_llli.has_indirect_call, 0
	.section	.AMDGPU.csdata,"",@progbits
; Kernel info:
; codeLenInByte = 996
; TotalNumSgprs: 40
; NumVgprs: 34
; ScratchSize: 0
; MemoryBound: 0
; FloatMode: 240
; IeeeMode: 1
; LDSByteSize: 0 bytes/workgroup (compile time only)
; SGPRBlocks: 0
; VGPRBlocks: 2
; NumSGPRsForWavesPerEU: 40
; NumVGPRsForWavesPerEU: 34
; NamedBarCnt: 0
; Occupancy: 16
; WaveLimiterHint : 1
; COMPUTE_PGM_RSRC2:SCRATCH_EN: 0
; COMPUTE_PGM_RSRC2:USER_SGPR: 2
; COMPUTE_PGM_RSRC2:TRAP_HANDLER: 0
; COMPUTE_PGM_RSRC2:TGID_X_EN: 1
; COMPUTE_PGM_RSRC2:TGID_Y_EN: 0
; COMPUTE_PGM_RSRC2:TGID_Z_EN: 1
; COMPUTE_PGM_RSRC2:TIDIG_COMP_CNT: 0
	.section	.AMDGPU.gpr_maximums,"",@progbits
	.set amdgpu.max_num_vgpr, 0
	.set amdgpu.max_num_agpr, 0
	.set amdgpu.max_num_sgpr, 0
	.section	.AMDGPU.csdata,"",@progbits
	.type	__hip_cuid_3c6befe68d80a7d3,@object ; @__hip_cuid_3c6befe68d80a7d3
	.section	.bss,"aw",@nobits
	.globl	__hip_cuid_3c6befe68d80a7d3
__hip_cuid_3c6befe68d80a7d3:
	.byte	0                               ; 0x0
	.size	__hip_cuid_3c6befe68d80a7d3, 1

	.ident	"AMD clang version 22.0.0git (https://github.com/RadeonOpenCompute/llvm-project roc-7.2.4 26084 f58b06dce1f9c15707c5f808fd002e18c2accf7e)"
	.section	".note.GNU-stack","",@progbits
	.addrsig
	.addrsig_sym __hip_cuid_3c6befe68d80a7d3
	.amdgpu_metadata
---
amdhsa.kernels:
  - .args:
      - .offset:         0
        .size:           1
        .value_kind:     by_value
      - .offset:         4
        .size:           4
        .value_kind:     by_value
      - .address_space:  global
        .offset:         8
        .size:           8
        .value_kind:     global_buffer
      - .address_space:  global
        .offset:         16
        .size:           8
        .value_kind:     global_buffer
      - .offset:         24
        .size:           8
        .value_kind:     by_value
      - .offset:         32
        .size:           8
        .value_kind:     by_value
      - .offset:         40
        .size:           8
        .value_kind:     by_value
      - .address_space:  global
        .offset:         48
        .size:           8
        .value_kind:     global_buffer
      - .offset:         56
        .size:           8
        .value_kind:     by_value
      - .offset:         64
        .size:           8
        .value_kind:     by_value
      - .offset:         72
        .size:           8
        .value_kind:     by_value
      - .offset:         80
        .size:           4
        .value_kind:     by_value
    .group_segment_fixed_size: 0
    .kernarg_segment_align: 8
    .kernarg_segment_size: 84
    .language:       OpenCL C
    .language_version:
      - 2
      - 0
    .max_flat_workgroup_size: 1024
    .name:           _ZL18rocblas_her_kernelILi1024EPKfPK19rocblas_complex_numIfEPS3_EvbiT0_T1_lllT2_llli
    .private_segment_fixed_size: 0
    .sgpr_count:     50
    .sgpr_spill_count: 0
    .symbol:         _ZL18rocblas_her_kernelILi1024EPKfPK19rocblas_complex_numIfEPS3_EvbiT0_T1_lllT2_llli.kd
    .uniform_work_group_size: 1
    .uses_dynamic_stack: false
    .vgpr_count:     40
    .vgpr_spill_count: 0
    .wavefront_size: 32
  - .args:
      - .offset:         0
        .size:           1
        .value_kind:     by_value
      - .offset:         4
        .size:           4
        .value_kind:     by_value
      - .offset:         8
        .size:           4
        .value_kind:     by_value
      - .address_space:  global
        .offset:         16
        .size:           8
        .value_kind:     global_buffer
      - .offset:         24
        .size:           8
        .value_kind:     by_value
      - .offset:         32
        .size:           8
        .value_kind:     by_value
      - .offset:         40
        .size:           8
        .value_kind:     by_value
      - .address_space:  global
        .offset:         48
        .size:           8
        .value_kind:     global_buffer
      - .offset:         56
        .size:           8
        .value_kind:     by_value
      - .offset:         64
        .size:           8
        .value_kind:     by_value
      - .offset:         72
        .size:           8
        .value_kind:     by_value
      - .offset:         80
        .size:           4
        .value_kind:     by_value
    .group_segment_fixed_size: 0
    .kernarg_segment_align: 8
    .kernarg_segment_size: 84
    .language:       OpenCL C
    .language_version:
      - 2
      - 0
    .max_flat_workgroup_size: 1024
    .name:           _ZL18rocblas_her_kernelILi1024EfPK19rocblas_complex_numIfEPS1_EvbiT0_T1_lllT2_llli
    .private_segment_fixed_size: 0
    .sgpr_count:     56
    .sgpr_spill_count: 0
    .symbol:         _ZL18rocblas_her_kernelILi1024EfPK19rocblas_complex_numIfEPS1_EvbiT0_T1_lllT2_llli.kd
    .uniform_work_group_size: 1
    .uses_dynamic_stack: false
    .vgpr_count:     40
    .vgpr_spill_count: 0
    .wavefront_size: 32
  - .args:
      - .offset:         0
        .size:           1
        .value_kind:     by_value
      - .offset:         4
        .size:           4
        .value_kind:     by_value
      - .address_space:  global
        .offset:         8
        .size:           8
        .value_kind:     global_buffer
      - .address_space:  global
        .offset:         16
        .size:           8
        .value_kind:     global_buffer
      - .offset:         24
        .size:           8
        .value_kind:     by_value
      - .offset:         32
        .size:           8
        .value_kind:     by_value
      - .offset:         40
        .size:           8
        .value_kind:     by_value
      - .address_space:  global
        .offset:         48
        .size:           8
        .value_kind:     global_buffer
      - .offset:         56
        .size:           8
        .value_kind:     by_value
      - .offset:         64
        .size:           8
        .value_kind:     by_value
      - .offset:         72
        .size:           8
        .value_kind:     by_value
      - .offset:         80
        .size:           4
        .value_kind:     by_value
    .group_segment_fixed_size: 0
    .kernarg_segment_align: 8
    .kernarg_segment_size: 84
    .language:       OpenCL C
    .language_version:
      - 2
      - 0
    .max_flat_workgroup_size: 1024
    .name:           _ZL18rocblas_her_kernelILi1024EPKdPK19rocblas_complex_numIdEPS3_EvbiT0_T1_lllT2_llli
    .private_segment_fixed_size: 0
    .sgpr_count:     42
    .sgpr_spill_count: 0
    .symbol:         _ZL18rocblas_her_kernelILi1024EPKdPK19rocblas_complex_numIdEPS3_EvbiT0_T1_lllT2_llli.kd
    .uniform_work_group_size: 1
    .uses_dynamic_stack: false
    .vgpr_count:     34
    .vgpr_spill_count: 0
    .wavefront_size: 32
  - .args:
      - .offset:         0
        .size:           1
        .value_kind:     by_value
      - .offset:         4
        .size:           4
        .value_kind:     by_value
      - .offset:         8
        .size:           8
        .value_kind:     by_value
      - .address_space:  global
        .offset:         16
        .size:           8
        .value_kind:     global_buffer
      - .offset:         24
        .size:           8
        .value_kind:     by_value
      - .offset:         32
        .size:           8
        .value_kind:     by_value
      - .offset:         40
        .size:           8
        .value_kind:     by_value
      - .address_space:  global
        .offset:         48
        .size:           8
        .value_kind:     global_buffer
      - .offset:         56
        .size:           8
        .value_kind:     by_value
      - .offset:         64
        .size:           8
        .value_kind:     by_value
      - .offset:         72
        .size:           8
        .value_kind:     by_value
      - .offset:         80
        .size:           4
        .value_kind:     by_value
    .group_segment_fixed_size: 0
    .kernarg_segment_align: 8
    .kernarg_segment_size: 84
    .language:       OpenCL C
    .language_version:
      - 2
      - 0
    .max_flat_workgroup_size: 1024
    .name:           _ZL18rocblas_her_kernelILi1024EdPK19rocblas_complex_numIdEPS1_EvbiT0_T1_lllT2_llli
    .private_segment_fixed_size: 0
    .sgpr_count:     42
    .sgpr_spill_count: 0
    .symbol:         _ZL18rocblas_her_kernelILi1024EdPK19rocblas_complex_numIdEPS1_EvbiT0_T1_lllT2_llli.kd
    .uniform_work_group_size: 1
    .uses_dynamic_stack: false
    .vgpr_count:     34
    .vgpr_spill_count: 0
    .wavefront_size: 32
  - .args:
      - .offset:         0
        .size:           1
        .value_kind:     by_value
      - .offset:         4
        .size:           4
        .value_kind:     by_value
      - .address_space:  global
        .offset:         8
        .size:           8
        .value_kind:     global_buffer
      - .address_space:  global
        .offset:         16
        .size:           8
        .value_kind:     global_buffer
      - .offset:         24
        .size:           8
        .value_kind:     by_value
      - .offset:         32
        .size:           8
        .value_kind:     by_value
      - .offset:         40
        .size:           8
        .value_kind:     by_value
      - .address_space:  global
        .offset:         48
        .size:           8
        .value_kind:     global_buffer
      - .offset:         56
        .size:           8
        .value_kind:     by_value
      - .offset:         64
        .size:           8
        .value_kind:     by_value
      - .offset:         72
        .size:           8
        .value_kind:     by_value
      - .offset:         80
        .size:           4
        .value_kind:     by_value
    .group_segment_fixed_size: 0
    .kernarg_segment_align: 8
    .kernarg_segment_size: 84
    .language:       OpenCL C
    .language_version:
      - 2
      - 0
    .max_flat_workgroup_size: 1024
    .name:           _ZL18rocblas_her_kernelILi1024EPKfPKPK19rocblas_complex_numIfEPKPS3_EvbiT0_T1_lllT2_llli
    .private_segment_fixed_size: 0
    .sgpr_count:     48
    .sgpr_spill_count: 0
    .symbol:         _ZL18rocblas_her_kernelILi1024EPKfPKPK19rocblas_complex_numIfEPKPS3_EvbiT0_T1_lllT2_llli.kd
    .uniform_work_group_size: 1
    .uses_dynamic_stack: false
    .vgpr_count:     46
    .vgpr_spill_count: 0
    .wavefront_size: 32
  - .args:
      - .offset:         0
        .size:           1
        .value_kind:     by_value
      - .offset:         4
        .size:           4
        .value_kind:     by_value
      - .offset:         8
        .size:           4
        .value_kind:     by_value
      - .address_space:  global
        .offset:         16
        .size:           8
        .value_kind:     global_buffer
      - .offset:         24
        .size:           8
        .value_kind:     by_value
      - .offset:         32
        .size:           8
        .value_kind:     by_value
      - .offset:         40
        .size:           8
        .value_kind:     by_value
      - .address_space:  global
        .offset:         48
        .size:           8
        .value_kind:     global_buffer
      - .offset:         56
        .size:           8
        .value_kind:     by_value
      - .offset:         64
        .size:           8
        .value_kind:     by_value
      - .offset:         72
        .size:           8
        .value_kind:     by_value
      - .offset:         80
        .size:           4
        .value_kind:     by_value
    .group_segment_fixed_size: 0
    .kernarg_segment_align: 8
    .kernarg_segment_size: 84
    .language:       OpenCL C
    .language_version:
      - 2
      - 0
    .max_flat_workgroup_size: 1024
    .name:           _ZL18rocblas_her_kernelILi1024EfPKPK19rocblas_complex_numIfEPKPS1_EvbiT0_T1_lllT2_llli
    .private_segment_fixed_size: 0
    .sgpr_count:     46
    .sgpr_spill_count: 0
    .symbol:         _ZL18rocblas_her_kernelILi1024EfPKPK19rocblas_complex_numIfEPKPS1_EvbiT0_T1_lllT2_llli.kd
    .uniform_work_group_size: 1
    .uses_dynamic_stack: false
    .vgpr_count:     46
    .vgpr_spill_count: 0
    .wavefront_size: 32
  - .args:
      - .offset:         0
        .size:           1
        .value_kind:     by_value
      - .offset:         4
        .size:           4
        .value_kind:     by_value
      - .address_space:  global
        .offset:         8
        .size:           8
        .value_kind:     global_buffer
      - .address_space:  global
        .offset:         16
        .size:           8
        .value_kind:     global_buffer
      - .offset:         24
        .size:           8
        .value_kind:     by_value
      - .offset:         32
        .size:           8
        .value_kind:     by_value
      - .offset:         40
        .size:           8
        .value_kind:     by_value
      - .address_space:  global
        .offset:         48
        .size:           8
        .value_kind:     global_buffer
      - .offset:         56
        .size:           8
        .value_kind:     by_value
      - .offset:         64
        .size:           8
        .value_kind:     by_value
      - .offset:         72
        .size:           8
        .value_kind:     by_value
      - .offset:         80
        .size:           4
        .value_kind:     by_value
    .group_segment_fixed_size: 0
    .kernarg_segment_align: 8
    .kernarg_segment_size: 84
    .language:       OpenCL C
    .language_version:
      - 2
      - 0
    .max_flat_workgroup_size: 1024
    .name:           _ZL18rocblas_her_kernelILi1024EPKdPKPK19rocblas_complex_numIdEPKPS3_EvbiT0_T1_lllT2_llli
    .private_segment_fixed_size: 0
    .sgpr_count:     38
    .sgpr_spill_count: 0
    .symbol:         _ZL18rocblas_her_kernelILi1024EPKdPKPK19rocblas_complex_numIdEPKPS3_EvbiT0_T1_lllT2_llli.kd
    .uniform_work_group_size: 1
    .uses_dynamic_stack: false
    .vgpr_count:     34
    .vgpr_spill_count: 0
    .wavefront_size: 32
  - .args:
      - .offset:         0
        .size:           1
        .value_kind:     by_value
      - .offset:         4
        .size:           4
        .value_kind:     by_value
      - .offset:         8
        .size:           8
        .value_kind:     by_value
      - .address_space:  global
        .offset:         16
        .size:           8
        .value_kind:     global_buffer
      - .offset:         24
        .size:           8
        .value_kind:     by_value
      - .offset:         32
        .size:           8
        .value_kind:     by_value
      - .offset:         40
        .size:           8
        .value_kind:     by_value
      - .address_space:  global
        .offset:         48
        .size:           8
        .value_kind:     global_buffer
      - .offset:         56
        .size:           8
        .value_kind:     by_value
      - .offset:         64
        .size:           8
        .value_kind:     by_value
      - .offset:         72
        .size:           8
        .value_kind:     by_value
      - .offset:         80
        .size:           4
        .value_kind:     by_value
    .group_segment_fixed_size: 0
    .kernarg_segment_align: 8
    .kernarg_segment_size: 84
    .language:       OpenCL C
    .language_version:
      - 2
      - 0
    .max_flat_workgroup_size: 1024
    .name:           _ZL18rocblas_her_kernelILi1024EdPKPK19rocblas_complex_numIdEPKPS1_EvbiT0_T1_lllT2_llli
    .private_segment_fixed_size: 0
    .sgpr_count:     40
    .sgpr_spill_count: 0
    .symbol:         _ZL18rocblas_her_kernelILi1024EdPKPK19rocblas_complex_numIdEPKPS1_EvbiT0_T1_lllT2_llli.kd
    .uniform_work_group_size: 1
    .uses_dynamic_stack: false
    .vgpr_count:     34
    .vgpr_spill_count: 0
    .wavefront_size: 32
amdhsa.target:   amdgcn-amd-amdhsa--gfx1250
amdhsa.version:
  - 1
  - 2
...

	.end_amdgpu_metadata
